;; amdgpu-corpus repo=ROCm/aiter kind=harvested arch=n/a opt=n/a

/root/src/amdgpu-assembly/repos/ROCm__aiter/hsa/gfx950/fmha_v3_bwd/bwd_hd192_bf16_a32_rtna_psskddv_group.co:	file format elf64-amdgpu

Disassembly of section .text:

0000000000004000 <_ZN5aiter52fmha_bwd_hd192_bf16_a32_rtna_psskddv_group_recompileE>:
	s_and_b32 s1, s1, 0xffff                                   // 000000004000: 8601FF01 0000FFFF
	s_load_dwordx2 s[32:33], s[0:1], 0x0                       // 000000004008: C0060800 00000000
	s_load_dwordx2 s[36:37], s[0:1], 0x10                      // 000000004010: C0060900 00000010
	s_load_dwordx2 s[40:41], s[0:1], 0x20                      // 000000004018: C0060A00 00000020
	s_load_dwordx2 s[8:9], s[0:1], 0x30                        // 000000004020: C0060200 00000030
	s_load_dwordx2 s[12:13], s[0:1], 0x40                      // 000000004028: C0060300 00000040
	s_load_dwordx2 s[16:17], s[0:1], 0x50                      // 000000004030: C0060400 00000050
	s_load_dwordx2 s[20:21], s[0:1], 0x60                      // 000000004038: C0060500 00000060
	s_load_dwordx2 s[24:25], s[0:1], 0x70                      // 000000004040: C0060600 00000070
	s_load_dwordx2 s[28:29], s[0:1], 0x80                      // 000000004048: C0060700 00000080
	s_load_dword s47, s[0:1], 0x90                             // 000000004050: C0020BC0 00000090
	s_load_dword s48, s[0:1], 0xa0                             // 000000004058: C0020C00 000000A0
	s_load_dword s74, s[0:1], 0xd0                             // 000000004060: C0021280 000000D0
	s_load_dword s5, s[0:1], 0xf0                              // 000000004068: C0020140 000000F0
	s_load_dword s44, s[0:1], 0x100                            // 000000004070: C0020B00 00000100
	s_load_dword s75, s[0:1], 0x110                            // 000000004078: C00212C0 00000110
	s_load_dword s6, s[0:1], 0x130                             // 000000004080: C0020180 00000130
	s_load_dword s52, s[0:1], 0x140                            // 000000004088: C0020D00 00000140
	s_load_dword s50, s[0:1], 0x160                            // 000000004090: C0020C80 00000160
	s_load_dword s76, s[0:1], 0x190                            // 000000004098: C0021300 00000190
	s_load_dword s7, s[0:1], 0x1b0                             // 0000000040A0: C00201C0 000001B0
	s_load_dword s77, s[0:1], 0x1c0                            // 0000000040A8: C0021340 000001C0
	s_load_dword s51, s[0:1], 0x1e0                            // 0000000040B0: C0020CC0 000001E0
	s_load_dword s78, s[0:1], 0x1f0                            // 0000000040B8: C0021380 000001F0
	s_load_dword s79, s[0:1], 0x210                            // 0000000040C0: C00213C0 00000210
	s_load_dword s53, s[0:1], 0x230                            // 0000000040C8: C0020D40 00000230
	s_load_dword s49, s[0:1], 0x240                            // 0000000040D0: C0020C40 00000240
	s_load_dwordx2 s[84:85], s[0:1], 0x250                     // 0000000040D8: C0061500 00000250
	s_load_dwordx2 s[88:89], s[0:1], 0x260                     // 0000000040E0: C0061600 00000260
	s_load_dwordx2 s[92:93], s[0:1], 0x270                     // 0000000040E8: C0061700 00000270
	s_load_dwordx2 s[96:97], s[0:1], 0x280                     // 0000000040F0: C0061800 00000280
	v_lshrrev_b32_e32 v1, 10, v0                               // 0000000040F8: 2002008A
	v_lshrrev_b32_e32 v2, 10, v1                               // 0000000040FC: 2004028A
	v_and_b32_e32 v2, 0x3ff, v2                                // 000000004100: 260404FF 000003FF
	v_and_b32_e32 v1, 0x3ff, v1                                // 000000004108: 260202FF 000003FF
	v_and_b32_e32 v0, 0x3ff, v0                                // 000000004110: 260000FF 000003FF
	v_lshrrev_b32_e32 v3, 6, v0                                // 000000004118: 20060086
	v_and_b32_e32 v0, 63, v0                                   // 00000000411C: 260000BF
	s_mov_b32 s2, s2                                           // 000000004120: BE820002
	s_mov_b32 s3, s3                                           // 000000004124: BE830003
	s_mov_b32 s4, s4                                           // 000000004128: BE840004
	v_readfirstlane_b32 s46, v3                                // 00000000412C: 7E5C0503
	s_waitcnt lgkmcnt(0)                                       // 000000004130: BF8CC07F
	s_mul_i32 s60, s4, 4                                       // 000000004134: 923C8404
	s_add_u32 s84, s60, s84                                    // 000000004138: 8054543C
	s_addc_u32 s85, 0, s85                                     // 00000000413C: 82555580
	s_load_dwordx2 s[80:81], s[84:85], 0x0                     // 000000004140: C006142A 00000000
	s_add_u32 s92, s60, s92                                    // 000000004148: 805C5C3C
	s_addc_u32 s93, 0, s93                                     // 00000000414C: 825D5D80
	s_load_dword s86, s[92:93], 0x0                            // 000000004150: C00215AE 00000000
	s_add_u32 s88, s60, s88                                    // 000000004158: 8058583C
	s_addc_u32 s89, 0, s89                                     // 00000000415C: 82595980
	s_load_dwordx2 s[82:83], s[88:89], 0x0                     // 000000004160: C00614AC 00000000
	s_add_u32 s96, s60, s96                                    // 000000004168: 8060603C
	s_addc_u32 s97, 0, s97                                     // 00000000416C: 82616180
	s_load_dword s87, s[96:97], 0x0                            // 000000004170: C00215F0 00000000
	s_mov_b32 s11, 0x20000                                     // 000000004178: BE8B00FF 00020000
	s_mov_b32 s15, 0x20000                                     // 000000004180: BE8F00FF 00020000
	s_mov_b32 s19, 0x20000                                     // 000000004188: BE9300FF 00020000
	s_mov_b32 s23, 0x20000                                     // 000000004190: BE9700FF 00020000
	s_mov_b32 s27, 0x20000                                     // 000000004198: BE9B00FF 00020000
	s_mov_b32 s31, 0x20000                                     // 0000000041A0: BE9F00FF 00020000
	s_mov_b32 s35, 0x20000                                     // 0000000041A8: BEA300FF 00020000
	s_mov_b32 s39, 0x20000                                     // 0000000041B0: BEA700FF 00020000
	s_mov_b32 s43, 0x20000                                     // 0000000041B8: BEAB00FF 00020000
	s_and_b32 s9, s9, 0xffff                                   // 0000000041C0: 8609FF09 0000FFFF
	s_and_b32 s13, s13, 0xffff                                 // 0000000041C8: 860DFF0D 0000FFFF
	s_and_b32 s17, s17, 0xffff                                 // 0000000041D0: 8611FF11 0000FFFF
	s_and_b32 s21, s21, 0xffff                                 // 0000000041D8: 8615FF15 0000FFFF
	s_and_b32 s25, s25, 0xffff                                 // 0000000041E0: 8619FF19 0000FFFF
	s_and_b32 s29, s29, 0xffff                                 // 0000000041E8: 861DFF1D 0000FFFF
	s_and_b32 s33, s33, 0xffff                                 // 0000000041F0: 8621FF21 0000FFFF
	s_and_b32 s37, s37, 0xffff                                 // 0000000041F8: 8625FF25 0000FFFF
	s_and_b32 s41, s41, 0xffff                                 // 000000004200: 8629FF29 0000FFFF
	s_or_b32 s9, s9, 0x40000                                   // 000000004208: 8709FF09 00040000
	s_or_b32 s13, s13, 0x40000                                 // 000000004210: 870DFF0D 00040000
	s_or_b32 s17, s17, 0x40000                                 // 000000004218: 8711FF11 00040000
	s_or_b32 s21, s21, 0x40000                                 // 000000004220: 8715FF15 00040000
	s_or_b32 s25, s25, 0x40000                                 // 000000004228: 8719FF19 00040000
	s_or_b32 s29, s29, 0x40000                                 // 000000004230: 871DFF1D 00040000
	s_or_b32 s33, s33, 0x40000                                 // 000000004238: 8721FF21 00040000
	s_or_b32 s37, s37, 0x40000                                 // 000000004240: 8725FF25 00040000
	s_or_b32 s41, s41, 0x40000                                 // 000000004248: 8729FF29 00040000
	s_waitcnt lgkmcnt(0)                                       // 000000004250: BF8CC07F
	s_mul_i32 s61, s2, 64                                      // 000000004254: 923DC002
	s_sub_i32 s83, s83, s82                                    // 000000004258: 81D35253
	s_mov_b32 s82, s87                                         // 00000000425C: BED20057
	s_sub_i32 s81, s81, s80                                    // 000000004260: 81D15051
	s_mov_b32 s80, s86                                         // 000000004264: BED00056
	s_cmp_gt_i32 s81, 0                                        // 000000004268: BF028051
	s_cbranch_scc0 label_132D                                  // 00000000426C: BF841291
	s_mov_b32 s58, s81                                         // 000000004270: BEBA0051
	s_mov_b32 s59, 0                                           // 000000004274: BEBB0080
	s_cmp_ge_i32 s61, s83                                      // 000000004278: BF03533D
	s_cbranch_scc1 label_132D                                  // 00000000427C: BF85128D
	v_accvgpr_write_b32 a143, 0                                // 000000004280: D3D9408F 18000080
	v_mov_b32_e32 v213, 0                                      // 000000004288: 7FAA0280
	s_mov_b32 s71, s3                                          // 00000000428C: BEC70003
	v_cvt_f32_u32_e32 v28, s44                                 // 000000004290: 7E380C2C
	s_sub_i32 s60, 0, s44                                      // 000000004294: 81BC2C80
	v_rcp_iflag_f32_e32 v28, v28                               // 000000004298: 7E38471C
	s_nop 0                                                    // 00000000429C: BF800000
	v_mul_f32_e32 v28, 0x4f7ffffe, v28                         // 0000000042A0: 0A3838FF 4F7FFFFE
	v_cvt_u32_f32_e32 v28, v28                                 // 0000000042A8: 7E380F1C
	v_mul_lo_u32 v29, s60, v28                                 // 0000000042AC: D285001D 0002383C
	v_mul_hi_u32 v29, v28, v29                                 // 0000000042B4: D286001D 00023B1C
	v_add_u32_e32 v28, v28, v29                                // 0000000042BC: 68383B1C
	v_mul_hi_u32 v28, s71, v28                                 // 0000000042C0: D286001C 00023847
	v_mul_lo_u32 v29, v28, s44                                 // 0000000042C8: D285001D 0000591C
	v_sub_u32_e32 v31, s71, v29                                // 0000000042D0: 6A3E3A47
	v_add_u32_e32 v30, 1, v28                                  // 0000000042D4: 683C3881
	v_cmp_le_u32_e32 vcc, s44, v31                             // 0000000042D8: 7D963E2C
	v_subrev_u32_e32 v29, s44, v31                             // 0000000042DC: 6C3A3E2C
	s_nop 0                                                    // 0000000042E0: BF800000
	v_cndmask_b32_e32 v28, v28, v30, vcc                       // 0000000042E4: 00383D1C
	v_cndmask_b32_e32 v31, v31, v29, vcc                       // 0000000042E8: 003E3B1F
	v_add_u32_e32 v29, 1, v28                                  // 0000000042EC: 683A3881
	v_cmp_le_u32_e32 vcc, s44, v31                             // 0000000042F0: 7D963E2C
	s_nop 1                                                    // 0000000042F4: BF800001
	v_cndmask_b32_e32 v31, v28, v29, vcc                       // 0000000042F8: 003E3B1C
	s_nop 3                                                    // 0000000042FC: BF800003
	v_readfirstlane_b32 s45, v31                               // 000000004300: 7E5A051F
	s_nop 3                                                    // 000000004304: BF800003
	s_mov_b32 s84, s8                                          // 000000004308: BED40008
	s_mov_b32 s86, s12                                         // 00000000430C: BED6000C
	s_mov_b32 s88, s16                                         // 000000004310: BED80010
	s_mov_b32 s90, s20                                         // 000000004314: BEDA0014
	s_mov_b32 s85, s9                                          // 000000004318: BED50009
	s_mov_b32 s87, s13                                         // 00000000431C: BED7000D
	s_mov_b32 s89, s17                                         // 000000004320: BED90011
	s_mov_b32 s91, s21                                         // 000000004324: BEDB0015
	v_mov_b32_e32 v28, s47                                     // 000000004328: 7E38022F
	v_mul_f32_e32 v28, s48, v28                                // 00000000432C: 0A383830
	s_mov_b32 s66, 0                                           // 000000004330: BEC20080
	s_mul_i32 s68, 4, s5                                       // 000000004334: 92440584
	s_mul_i32 s101, 4, s51                                     // 000000004338: 92653384
	s_mov_b32 s69, 16                                          // 00000000433C: BEC50090
	s_mov_b32 s63, 0x5040100                                   // 000000004340: BEBF00FF 05040100
	s_mov_b32 s64, 0x7060302                                   // 000000004348: BEC000FF 07060302
	v_readfirstlane_b32 s57, v28                               // 000000004350: 7E72051C
	v_mov_b32_e32 v30, 0x3020706                               // 000000004354: 7E3C02FF 03020706
	v_mov_b32_e32 v28, s63                                     // 00000000435C: 7E38023F
	v_and_b32_e32 v29, 1, v0                                   // 000000004360: 263A0081
	v_cmp_eq_u32_e32 vcc, 1, v29                               // 000000004364: 7D943A81
	s_mul_i32 s60, s50, 64                                     // 000000004368: 923CC032
	s_mov_b32 s67, s60                                         // 00000000436C: BEC3003C
	v_cndmask_b32_e32 v15, v28, v30, vcc                       // 000000004370: 001E3D1C
	v_mov_b32_e32 v159, 0xff800000                             // 000000004374: 7F3E02FF FF800000
	s_mul_i32 s60, s6, 64                                      // 00000000437C: 923CC006
	s_mul_i32 s60, s2, s60                                     // 000000004380: 923C3C02
	s_mul_i32 s61, s45, s75                                    // 000000004384: 923D4B2D
	s_add_u32 s54, s60, s61                                    // 000000004388: 80363D3C
	s_mul_i32 s60, s2, 64                                      // 00000000438C: 923CC002
	s_sub_i32 s60, s83, s60                                    // 000000004390: 81BC3C53
	s_mul_i32 s60, s6, s60                                     // 000000004394: 923C3C06
	s_lshr_b32 s60, s60, 2                                     // 000000004398: 8F3C823C
	s_mov_b32 s14, s60                                         // 00000000439C: BE8E003C
	s_add_u32 s12, s54, s86                                    // 0000000043A0: 800C5636
	s_addc_u32 s13, 0, s87                                     // 0000000043A4: 820D5780
	s_mul_i32 s60, s82, s6                                     // 0000000043A8: 923C0652
	s_mul_hi_u32 s61, s82, s6                                  // 0000000043AC: 963D0652
	s_and_b32 s61, s61, 0xffff                                 // 0000000043B0: 863DFF3D 0000FFFF
	s_add_u32 s12, s12, s60                                    // 0000000043B8: 800C3C0C
	s_addc_u32 s13, s13, s61                                   // 0000000043BC: 820D3D0D
	s_mul_i32 s60, s7, 64                                      // 0000000043C0: 923CC007
	s_mul_i32 s60, s2, s60                                     // 0000000043C4: 923C3C02
	s_mul_i32 s61, s45, s76                                    // 0000000043C8: 923D4C2D
	s_add_u32 s54, s60, s61                                    // 0000000043CC: 80363D3C
	s_mul_i32 s60, s2, 64                                      // 0000000043D0: 923CC002
	s_sub_i32 s60, s83, s60                                    // 0000000043D4: 81BC3C53
	s_mul_i32 s60, s7, s60                                     // 0000000043D8: 923C3C07
	s_lshr_b32 s60, s60, 2                                     // 0000000043DC: 8F3C823C
	s_mov_b32 s18, s60                                         // 0000000043E0: BE92003C
	s_add_u32 s16, s54, s88                                    // 0000000043E4: 80105836
	s_addc_u32 s17, 0, s89                                     // 0000000043E8: 82115980
	s_mul_i32 s60, s82, s7                                     // 0000000043EC: 923C0752
	s_mul_hi_u32 s61, s82, s7                                  // 0000000043F0: 963D0752
	s_and_b32 s61, s61, 0xffff                                 // 0000000043F4: 863DFF3D 0000FFFF
	s_add_u32 s16, s16, s60                                    // 0000000043FC: 80103C10
	s_addc_u32 s17, s17, s61                                   // 000000004400: 82113D11
	s_mul_i32 s61, s3, s74                                     // 000000004404: 923D4A03
	s_mov_b32 s55, s61                                         // 000000004408: BEB7003D
	s_mul_i32 s60, s5, s81                                     // 00000000440C: 923C5105
	s_lshr_b32 s60, s60, 2                                     // 000000004410: 8F3C823C
	s_mov_b32 s10, s60                                         // 000000004414: BE8A003C
	s_add_u32 s8, s55, s84                                     // 000000004418: 80085437
	s_addc_u32 s9, 0, s85                                      // 00000000441C: 82095580
	s_mul_i32 s60, s80, s5                                     // 000000004420: 923C0550
	s_mul_hi_u32 s61, s80, s5                                  // 000000004424: 963D0550
	s_and_b32 s61, s61, 0xffff                                 // 000000004428: 863DFF3D 0000FFFF
	s_add_u32 s8, s8, s60                                      // 000000004430: 80083C08
	s_addc_u32 s9, s9, s61                                     // 000000004434: 82093D09
	s_mul_i32 s61, s3, s77                                     // 000000004438: 923D4D03
	s_mov_b32 s56, s61                                         // 00000000443C: BEB8003D
	s_mul_i32 s60, s51, s81                                    // 000000004440: 923C5133
	s_lshr_b32 s60, s60, 2                                     // 000000004444: 8F3C823C
	s_mov_b32 s22, s60                                         // 000000004448: BE96003C
	s_add_u32 s20, s56, s90                                    // 00000000444C: 80145A38
	s_addc_u32 s21, 0, s91                                     // 000000004450: 82155B80
	s_mul_i32 s60, s80, s51                                    // 000000004454: 923C3350
	s_mul_hi_u32 s61, s80, s51                                 // 000000004458: 963D3350
	s_and_b32 s61, s61, 0xffff                                 // 00000000445C: 863DFF3D 0000FFFF
	s_add_u32 s20, s20, s60                                    // 000000004464: 80143C14
	s_addc_u32 s21, s21, s61                                   // 000000004468: 82153D15
	s_mul_i32 s62, 4, s80                                      // 00000000446C: 923E5084
	s_mul_i32 s61, s3, s49                                     // 000000004470: 923D3103
	s_add_u32 s65, s61, s62                                    // 000000004474: 80413E3D
	s_mul_i32 s60, 4, s81                                      // 000000004478: 923C5184
	s_add_u32 s60, s60, s61                                    // 00000000447C: 803C3D3C
	s_add_u32 s60, s60, s62                                    // 000000004480: 803C3E3C
	s_lshr_b32 s60, s60, 2                                     // 000000004484: 8F3C823C
	s_mov_b32 s26, s60                                         // 000000004488: BE9A003C
	s_mov_b32 s30, s60                                         // 00000000448C: BE9E003C
	s_cmp_lt_u32 s46, 2                                        // 000000004490: BF0A822E
	s_cselect_b32 s24, s24, s28                                // 000000004494: 85181C18
	s_cselect_b32 s25, s25, s29                                // 000000004498: 85191D19
	s_cselect_b32 s26, s26, s30                                // 00000000449C: 851A1E1A
	s_cselect_b32 s27, s27, s31                                // 0000000044A0: 851B1F1B
	s_mov_b32 s71, s6                                          // 0000000044A4: BEC70006
	v_lshrrev_b32_e32 v28, 4, v0                               // 0000000044A8: 20380084
	v_and_b32_e32 v29, 1, v28                                  // 0000000044AC: 263A3881
	v_lshlrev_b32_e32 v29, 1, v29                              // 0000000044B0: 243A3A81
	v_mul_i32_i24_e32 v29, s71, v29                            // 0000000044B4: 0C3A3A47
	v_and_b32_e32 v30, 2, v28                                  // 0000000044B8: 263C3882
	v_lshlrev_b32_e32 v30, 5, v30                              // 0000000044BC: 243C3C85
	v_add_u32_e32 v29, v30, v29                                // 0000000044C0: 683A3B1E
	v_and_b32_e32 v28, 15, v0                                  // 0000000044C4: 2638008F
	v_lshlrev_b32_e32 v28, 2, v28                              // 0000000044C8: 24383882
	v_add_u32_e32 v1, v28, v29                                 // 0000000044CC: 68023B1C
	s_mul_i32 s60, s46, s71                                    // 0000000044D0: 923C472E
	s_mul_i32 s60, s60, 4                                      // 0000000044D4: 923C843C
	v_add_u32_e32 v1, s60, v1                                  // 0000000044D8: 6802023C
	v_add_u32_e32 v2, s71, v1                                  // 0000000044DC: 68040247
	s_mov_b32 s71, s7                                          // 0000000044E0: BEC70007
	v_lshrrev_b32_e32 v28, 4, v0                               // 0000000044E4: 20380084
	v_and_b32_e32 v29, 1, v28                                  // 0000000044E8: 263A3881
	v_lshlrev_b32_e32 v29, 1, v29                              // 0000000044EC: 243A3A81
	v_mul_i32_i24_e32 v29, s71, v29                            // 0000000044F0: 0C3A3A47
	v_and_b32_e32 v30, 2, v28                                  // 0000000044F4: 263C3882
	v_lshlrev_b32_e32 v30, 5, v30                              // 0000000044F8: 243C3C85
	v_add_u32_e32 v29, v30, v29                                // 0000000044FC: 683A3B1E
	v_and_b32_e32 v28, 15, v0                                  // 000000004500: 2638008F
	v_lshlrev_b32_e32 v28, 2, v28                              // 000000004504: 24383882
	v_add_u32_e32 v212, v28, v29                               // 000000004508: 69A83B1C
	s_mul_i32 s60, s46, s71                                    // 00000000450C: 923C472E
	s_mul_i32 s60, s60, 4                                      // 000000004510: 923C843C
	v_add_u32_e32 v212, s60, v212                              // 000000004514: 69A9A83C
	v_add_u32_e32 v213, s71, v212                              // 000000004518: 69ABA847
	v_lshrrev_b32_e32 v1, 2, v1                                // 00000000451C: 20020282
	v_lshrrev_b32_e32 v2, 2, v2                                // 000000004520: 20040482
	v_lshrrev_b32_e32 v212, 2, v212                            // 000000004524: 21A9A882
	v_lshrrev_b32_e32 v213, 2, v213                            // 000000004528: 21ABAA82
	v_and_b32_e32 v9, 15, v0                                   // 00000000452C: 2612008F
	v_lshlrev_b32_e32 v9, 2, v9                                // 000000004530: 24121282
	v_add_u32_e32 v9, s65, v9                                  // 000000004534: 68121241
	v_lshrrev_b32_e32 v9, 2, v9                                // 000000004538: 20121282
	s_mov_b32 s70, s52                                         // 00000000453C: BEC60034
	v_lshrrev_b32_e32 v28, 3, v0                               // 000000004540: 20380083
	v_mul_i32_i24_e32 v3, s70, v28                             // 000000004544: 0C063846
	v_lshrrev_b32_e32 v3, 2, v3                                // 000000004548: 20060682
	v_and_b32_e32 v28, 7, v0                                   // 00000000454C: 26380087
	v_lshlrev_b32_e32 v29, 2, v28                              // 000000004550: 243A3882
	v_add_u32_e32 v3, v29, v3                                  // 000000004554: 6806071D
	s_mul_i32 s60, 16, s70                                     // 000000004558: 923C4690
	s_mul_i32 s60, s46, s60                                    // 00000000455C: 923C3C2E
	v_lshlrev_b32_e32 v3, 2, v3                                // 000000004560: 24060682
	v_add_u32_e32 v3, s60, v3                                  // 000000004564: 6806063C
	s_mul_i32 s60, 8, s70                                      // 000000004568: 923C4688
	v_add_u32_e32 v4, s60, v3                                  // 00000000456C: 6808063C
	s_mul_i32 s60, 64, s52                                     // 000000004570: 923C34C0
	s_mul_i32 s60, s2, s60                                     // 000000004574: 923C3C02
	s_mul_i32 s61, s3, s78                                     // 000000004578: 923D4E03
	s_mul_i32 s62, s82, s52                                    // 00000000457C: 923E3452
	s_add_u32 s60, s60, s61                                    // 000000004580: 803C3D3C
	v_add_u32_e32 v3, s60, v3                                  // 000000004584: 6806063C
	v_lshrrev_b32_e32 v3, 2, v3                                // 000000004588: 20060682
	v_add_u32_e32 v4, s60, v4                                  // 00000000458C: 6808083C
	v_lshrrev_b32_e32 v4, 2, v4                                // 000000004590: 20080882
	s_mul_i32 s60, s83, s52                                    // 000000004594: 923C3453
	s_add_u32 s60, s60, s61                                    // 000000004598: 803C3D3C
	s_lshr_b32 s60, s60, 2                                     // 00000000459C: 8F3C823C
	s_mov_b32 s38, s60                                         // 0000000045A0: BEA6003C
	s_mul_hi_u32 s60, s82, s52                                 // 0000000045A4: 963C3452
	s_and_b32 s60, s60, 0xffff                                 // 0000000045A8: 863CFF3C 0000FFFF
	s_add_u32 s36, s62, s36                                    // 0000000045B0: 8024243E
	s_addc_u32 s37, s60, s37                                   // 0000000045B4: 8225253C
	s_mov_b32 s70, s53                                         // 0000000045B8: BEC60035
	v_lshrrev_b32_e32 v28, 3, v0                               // 0000000045BC: 20380083
	v_mul_i32_i24_e32 v5, s70, v28                             // 0000000045C0: 0C0A3846
	v_lshrrev_b32_e32 v5, 2, v5                                // 0000000045C4: 200A0A82
	v_and_b32_e32 v28, 7, v0                                   // 0000000045C8: 26380087
	v_lshlrev_b32_e32 v29, 2, v28                              // 0000000045CC: 243A3882
	v_add_u32_e32 v5, v29, v5                                  // 0000000045D0: 680A0B1D
	s_mul_i32 s60, 16, s70                                     // 0000000045D4: 923C4690
	s_mul_i32 s60, s46, s60                                    // 0000000045D8: 923C3C2E
	v_lshlrev_b32_e32 v5, 2, v5                                // 0000000045DC: 240A0A82
	v_add_u32_e32 v5, s60, v5                                  // 0000000045E0: 680A0A3C
	s_mul_i32 s60, 8, s70                                      // 0000000045E4: 923C4688
	v_add_u32_e32 v6, s60, v5                                  // 0000000045E8: 680C0A3C
	s_mul_i32 s60, 64, s53                                     // 0000000045EC: 923C35C0
	s_mul_i32 s60, s2, s60                                     // 0000000045F0: 923C3C02
	s_mul_i32 s61, s3, s79                                     // 0000000045F4: 923D4F03
	s_mul_i32 s62, s82, s53                                    // 0000000045F8: 923E3552
	s_add_u32 s60, s60, s61                                    // 0000000045FC: 803C3D3C
	v_add_u32_e32 v5, s60, v5                                  // 000000004600: 680A0A3C
	v_lshrrev_b32_e32 v5, 2, v5                                // 000000004604: 200A0A82
	v_add_u32_e32 v6, s60, v6                                  // 000000004608: 680C0C3C
	v_lshrrev_b32_e32 v6, 2, v6                                // 00000000460C: 200C0C82
	s_mul_i32 s60, s83, s53                                    // 000000004610: 923C3553
	s_add_u32 s60, s60, s61                                    // 000000004614: 803C3D3C
	s_lshr_b32 s60, s60, 2                                     // 000000004618: 8F3C823C
	s_mov_b32 s42, s60                                         // 00000000461C: BEAA003C
	s_mul_hi_u32 s60, s82, s53                                 // 000000004620: 963C3552
	s_and_b32 s60, s60, 0xffff                                 // 000000004624: 863CFF3C 0000FFFF
	s_add_u32 s40, s62, s40                                    // 00000000462C: 8028283E
	s_addc_u32 s41, s60, s41                                   // 000000004630: 8229293C
	v_lshrrev_b32_e32 v28, 5, v0                               // 000000004634: 20380085
	v_mul_i32_i24_e64 v29, s50, 2                              // 000000004638: D106001D 00010432
	v_mul_i32_i24_e32 v7, v29, v28                             // 000000004640: 0C0E391D
	v_and_b32_e32 v28, 31, v0                                  // 000000004644: 2638009F
	v_add_u32_e32 v7, v28, v7                                  // 000000004648: 680E0F1C
	s_mul_i32 s60, 4, s50                                      // 00000000464C: 923C3284
	s_mul_i32 s60, s46, s60                                    // 000000004650: 923C3C2E
	v_add_u32_e32 v7, s60, v7                                  // 000000004654: 680E0E3C
	v_lshlrev_b32_e32 v7, 2, v7                                // 000000004658: 240E0E82
	v_mul_i32_i24_e32 v29, 2, v29                              // 00000000465C: 0C3A3A82
	v_add_u32_e32 v8, v29, v7                                  // 000000004660: 68100F1D
	s_mul_i32 s72, s50, s65                                    // 000000004664: 92484132
	s_mul_hi_u32 s62, s50, s65                                 // 000000004668: 963E4132
	s_and_b32 s62, s62, 0xffff                                 // 00000000466C: 863EFF3E 0000FFFF
	s_add_u32 s32, s72, s32                                    // 000000004674: 80202048
	s_addc_u32 s33, s62, s33                                   // 000000004678: 8221213E
	s_mul_i32 s60, s50, s81                                    // 00000000467C: 923C5132
	s_lshl_b32 s60, s60, 2                                     // 000000004680: 8E3C823C
	s_mov_b32 s34, s60                                         // 000000004684: BEA2003C
	v_mov_b32_e32 v209, 0xffff0000                             // 000000004688: 7FA202FF FFFF0000
	v_mov_b32_e32 v210, 0x7fff0000                             // 000000004690: 7FA402FF 7FFF0000
	v_mov_b32_e32 v211, 0x7fff                                 // 000000004698: 7FA602FF 00007FFF
	s_mul_i32 s60, 64, s2                                      // 0000000046A0: 923C02C0
	s_sub_i32 s81, s83, s60                                    // 0000000046A4: 81D13C53
	s_lshr_b32 s60, s46, 1                                     // 0000000046A8: 8F3C812E
	s_lshl_b32 s60, s60, 8                                     // 0000000046AC: 8E3C883C
	s_add_u32 s76, 0x9f00, s60                                 // 0000000046B0: 804C3CFF 00009F00
	s_add_u32 s77, 0x200, s76                                  // 0000000046B8: 804D4CFF 00000200
	s_mov_b32 m0, s76                                          // 0000000046C0: BEFC004C
	v_lshrrev_b32_e32 v28, 2, v0                               // 0000000046C4: 20380082
	v_and_b32_e32 v29, 3, v28                                  // 0000000046C8: 263A3883
	v_lshrrev_b32_e32 v30, 3, v28                              // 0000000046CC: 203C3883
	v_lshlrev_b32_e32 v30, 2, v30                              // 0000000046D0: 243C3C82
	v_add_u32_e32 v28, v30, v29                                // 0000000046D4: 68383B1E
	v_mov_b32_e32 v30, s50                                     // 0000000046D8: 7E3C0232
	v_mov_b32_e32 v29, 0x80                                    // 0000000046DC: 7E3A02FF 00000080
	v_sub_u32_e32 v30, v30, v29                                // 0000000046E4: 6A3C3B1E
	v_lshrrev_b32_e32 v30, 3, v30                              // 0000000046E8: 203C3C83
	v_cmp_lt_u32_e64 s[78:79], v28, v30                        // 0000000046EC: D0C9004E 00023D1C
	s_mov_b32 s84, -1                                          // 0000000046F4: BED400C1
	s_mov_b32 s85, -1                                          // 0000000046F8: BED500C1
	v_and_b32_e32 v28, 7, v0                                   // 0000000046FC: 26380087
	v_mov_b32_e32 v29, s50                                     // 000000004700: 7E3A0232
	v_mov_b32_e32 v30, 0x80                                    // 000000004704: 7E3C02FF 00000080
	v_sub_u32_e32 v29, v29, v30                                // 00000000470C: 6A3A3D1D
	v_lshrrev_b32_e32 v29, 3, v29                              // 000000004710: 203A3A83
	v_cmp_lt_u32_e64 s[86:87], v28, v29                        // 000000004714: D0C90056 00023B1C
	v_and_b32_e32 v28, 31, v0                                  // 00000000471C: 2638009F
	v_lshrrev_b32_e32 v28, 3, v28                              // 000000004720: 20383883
	v_mov_b32_e32 v29, s50                                     // 000000004724: 7E3A0232
	v_mov_b32_e32 v30, 0x80                                    // 000000004728: 7E3C02FF 00000080
	v_sub_u32_e32 v29, v29, v30                                // 000000004730: 6A3A3D1D
	v_lshrrev_b32_e32 v29, 3, v29                              // 000000004734: 203A3A83
	v_cmp_lt_u32_e64 s[88:89], v28, v29                        // 000000004738: D0C90058 00023B1C
	v_add_u32_e32 v28, 4, v28                                  // 000000004740: 68383884
	v_cmp_lt_u32_e64 s[90:91], v28, v29                        // 000000004744: D0C9005A 00023B1C
	v_and_b32_e32 v28, 31, v0                                  // 00000000474C: 2638009F
	v_lshrrev_b32_e32 v28, 1, v28                              // 000000004750: 20383881
	v_and_b32_e32 v29, 1, v28                                  // 000000004754: 263A3881
	v_lshlrev_b32_e32 v29, 4, v29                              // 000000004758: 243A3A84
	v_and_b32_e32 v30, 2, v28                                  // 00000000475C: 263C3882
	v_lshlrev_b32_e32 v30, 2, v30                              // 000000004760: 243C3C82
	v_add_u32_e32 v29, v30, v29                                // 000000004764: 683A3B1E
	v_and_b32_e32 v30, 12, v28                                 // 000000004768: 263C388C
	v_lshrrev_b32_e32 v30, 1, v30                              // 00000000476C: 203C3C81
	v_add_u32_e32 v29, v30, v29                                // 000000004770: 683A3B1E
	v_lshrrev_b32_e32 v28, 5, v0                               // 000000004774: 20380085
	v_mul_i32_i24_e32 v30, 0x80, v28                           // 000000004778: 0C3C38FF 00000080
	v_add_u32_e32 v29, v30, v29                                // 000000004780: 683A3B1E
	v_and_b32_e32 v30, 1, v0                                   // 000000004784: 263C0081
	v_add_u32_e32 v11, v30, v29                                // 000000004788: 68163B1E
	s_mul_i32 s60, s46, 32                                     // 00000000478C: 923CA02E
	v_add_u32_e32 v11, s60, v11                                // 000000004790: 6816163C
	v_lshlrev_b32_e32 v11, 2, v11                              // 000000004794: 24161682
	v_lshrrev_b32_e32 v28, 4, v0                               // 000000004798: 20380084
	v_and_b32_e32 v29, 1, v28                                  // 00000000479C: 263A3881
	v_lshlrev_b32_e32 v29, 4, v29                              // 0000000047A0: 243A3A84
	v_and_b32_e32 v30, 2, v28                                  // 0000000047A4: 263C3882
	v_mul_i32_i24_e32 v30, 4, v30                              // 0000000047A8: 0C3C3C84
	v_add_u32_e32 v29, v30, v29                                // 0000000047AC: 683A3B1E
	v_and_b32_e32 v28, 15, v0                                  // 0000000047B0: 2638008F
	v_lshrrev_b32_e32 v30, 2, v28                              // 0000000047B4: 203C3882
	v_lshlrev_b32_e32 v30, 5, v30                              // 0000000047B8: 243C3C85
	v_add_u32_e32 v29, v30, v29                                // 0000000047BC: 683A3B1E
	v_and_b32_e32 v28, 3, v0                                   // 0000000047C0: 26380083
	v_and_b32_e32 v30, 1, v28                                  // 0000000047C4: 263C3881
	v_mul_i32_i24_e32 v30, 0x108, v30                          // 0000000047C8: 0C3C3CFF 00000108
	v_add_u32_e32 v29, v30, v29                                // 0000000047D0: 683A3B1E
	v_and_b32_e32 v30, 2, v28                                  // 0000000047D4: 263C3882
	v_lshlrev_b32_e32 v30, 1, v30                              // 0000000047D8: 243C3C81
	v_add_u32_e32 v10, v30, v29                                // 0000000047DC: 68143B1E
	v_lshlrev_b32_e32 v10, 2, v10                              // 0000000047E0: 24141482
	s_mul_i32 s60, s46, 0x1980                                 // 0000000047E4: 923CFF2E 00001980
	v_add_u32_e32 v22, s60, v10                                // 0000000047EC: 682C143C
	v_lshrrev_b32_e32 v28, 5, v0                               // 0000000047F0: 20380085
	v_mul_i32_i24_e32 v13, 0x80, v28                           // 0000000047F4: 0C1A38FF 00000080
	v_and_b32_e32 v28, 31, v0                                  // 0000000047FC: 2638009F
	v_and_b32_e32 v29, 7, v28                                  // 000000004800: 263A3887
	v_and_b32_e32 v30, 1, v29                                  // 000000004804: 263C3A81
	v_lshlrev_b32_e32 v30, 2, v30                              // 000000004808: 243C3C82
	v_add_u32_e32 v13, v30, v13                                // 00000000480C: 681A1B1E
	v_and_b32_e32 v30, 2, v29                                  // 000000004810: 263C3A82
	v_lshlrev_b32_e32 v30, 3, v30                              // 000000004814: 243C3C83
	v_add_u32_e32 v13, v30, v13                                // 000000004818: 681A1B1E
	v_and_b32_e32 v30, 4, v29                                  // 00000000481C: 263C3A84
	v_lshlrev_b32_e32 v30, 1, v30                              // 000000004820: 243C3C81
	v_add_u32_e32 v13, v30, v13                                // 000000004824: 681A1B1E
	v_lshrrev_b32_e32 v29, 3, v28                              // 000000004828: 203A3883
	v_and_b32_e32 v30, 1, v29                                  // 00000000482C: 263C3A81
	v_lshlrev_b32_e32 v30, 1, v30                              // 000000004830: 243C3C81
	v_add_u32_e32 v13, v30, v13                                // 000000004834: 681A1B1E
	v_and_b32_e32 v30, 2, v29                                  // 000000004838: 263C3A82
	v_lshrrev_b32_e32 v30, 1, v30                              // 00000000483C: 203C3C81
	v_add_u32_e32 v13, v30, v13                                // 000000004840: 681A1B1E
	s_mul_i32 s60, s46, 32                                     // 000000004844: 923CA02E
	v_add_u32_e32 v13, s60, v13                                // 000000004848: 681A1A3C
	v_lshlrev_b32_e32 v13, 2, v13                              // 00000000484C: 241A1A82
	v_and_b32_e32 v28, 15, v0                                  // 000000004850: 2638008F
	v_and_b32_e32 v30, 1, v28                                  // 000000004854: 263C3881
	v_mul_i32_i24_e32 v12, 0x108, v30                          // 000000004858: 0C183CFF 00000108
	v_and_b32_e32 v30, 2, v28                                  // 000000004860: 263C3882
	v_lshlrev_b32_e32 v30, 1, v30                              // 000000004864: 243C3C81
	v_add_u32_e32 v12, v30, v12                                // 000000004868: 6818191E
	v_and_b32_e32 v30, 4, v28                                  // 00000000486C: 263C3884
	v_lshlrev_b32_e32 v30, 2, v30                              // 000000004870: 243C3C82
	v_add_u32_e32 v12, v30, v12                                // 000000004874: 6818191E
	v_and_b32_e32 v30, 8, v28                                  // 000000004878: 263C3888
	v_add_u32_e32 v12, v30, v12                                // 00000000487C: 6818191E
	v_lshrrev_b32_e32 v28, 4, v0                               // 000000004880: 20380084
	v_and_b32_e32 v30, 1, v28                                  // 000000004884: 263C3881
	v_lshlrev_b32_e32 v30, 5, v30                              // 000000004888: 243C3C85
	v_add_u32_e32 v12, v30, v12                                // 00000000488C: 6818191E
	v_and_b32_e32 v29, 2, v28                                  // 000000004890: 263A3882
	v_mul_i32_i24_e32 v30, 32, v29                             // 000000004894: 0C3C3AA0
	v_add_u32_e32 v12, v30, v12                                // 000000004898: 6818191E
	v_lshlrev_b32_e32 v12, 2, v12                              // 00000000489C: 24181882
	v_lshrrev_b32_e32 v28, 4, v0                               // 0000000048A0: 20380084
	v_mul_i32_i24_e32 v21, 4, v28                              // 0000000048A4: 0C2A3884
	v_and_b32_e32 v29, 3, v0                                   // 0000000048A8: 263A0083
	v_add_u32_e32 v21, v29, v21                                // 0000000048AC: 682A2B1D
	v_lshlrev_b32_e32 v21, 2, v21                              // 0000000048B0: 242A2A82
	v_lshrrev_b32_e32 v28, 5, v0                               // 0000000048B4: 20380085
	v_mul_i32_i24_e32 v26, 0x104, v28                          // 0000000048B8: 0C3438FF 00000104
	v_and_b32_e32 v28, 31, v0                                  // 0000000048C0: 2638009F
	v_and_b32_e32 v29, 7, v28                                  // 0000000048C4: 263A3887
	v_lshlrev_b32_e32 v30, 2, v29                              // 0000000048C8: 243C3A82
	v_add_u32_e32 v26, v30, v26                                // 0000000048CC: 6834351E
	v_lshrrev_b32_e32 v29, 3, v28                              // 0000000048D0: 203A3883
	v_and_b32_e32 v30, 1, v29                                  // 0000000048D4: 263C3A81
	v_mul_i32_i24_e32 v30, 0x82, v30                           // 0000000048D8: 0C3C3CFF 00000082
	v_add_u32_e32 v26, v30, v26                                // 0000000048E0: 6834351E
	v_and_b32_e32 v30, 2, v29                                  // 0000000048E4: 263C3A82
	v_lshrrev_b32_e32 v30, 1, v30                              // 0000000048E8: 203C3C81
	v_add_u32_e32 v26, v30, v26                                // 0000000048EC: 6834351E
	s_mul_i32 s60, s46, 32                                     // 0000000048F0: 923CA02E
	v_add_u32_e32 v26, s60, v26                                // 0000000048F4: 6834343C
	v_lshlrev_b32_e32 v26, 2, v26                              // 0000000048F8: 24343482
	v_lshrrev_b32_e32 v28, 5, v0                               // 0000000048FC: 20380085
	v_mul_i32_i24_e32 v23, 0x618, v28                          // 000000004900: 0C2E38FF 00000618
	v_and_b32_e32 v28, 31, v0                                  // 000000004908: 2638009F
	v_lshlrev_b32_e32 v28, 1, v28                              // 00000000490C: 24383881
	v_add_u32_e32 v23, v28, v23                                // 000000004910: 682E2F1C
	s_mul_i32 s60, s46, 0x186                                  // 000000004914: 923CFF2E 00000186
	v_add_u32_e32 v23, s60, v23                                // 00000000491C: 682E2E3C
	v_lshlrev_b32_e32 v23, 2, v23                              // 000000004920: 242E2E82
	v_lshrrev_b32_e32 v28, 4, v0                               // 000000004924: 20380084
	v_and_b32_e32 v29, 1, v28                                  // 000000004928: 263A3881
	v_mul_i32_i24_e32 v19, 0x100, v29                          // 00000000492C: 0C263AFF 00000100
	v_and_b32_e32 v29, 2, v28                                  // 000000004934: 263A3882
	v_mul_i32_i24_e32 v29, 64, v29                             // 000000004938: 0C3A3AC0
	v_add_u32_e32 v19, v29, v19                                // 00000000493C: 6826271D
	v_and_b32_e32 v28, 15, v0                                  // 000000004940: 2638008F
	v_mul_i32_i24_e32 v29, 2, v28                              // 000000004944: 0C3A3882
	v_add_u32_e32 v19, v29, v19                                // 000000004948: 6826271D
	s_mul_i32 s60, s46, 32                                     // 00000000494C: 923CA02E
	v_add_u32_e32 v19, s60, v19                                // 000000004950: 6826263C
	v_lshlrev_b32_e32 v19, 2, v19                              // 000000004954: 24262682
	v_lshlrev_b32_e32 v20, 1, v0                               // 000000004958: 24280081
	s_mul_i32 s60, s46, 0x300                                  // 00000000495C: 923CFF2E 00000300
	v_add_u32_e32 v20, s60, v20                                // 000000004964: 6828283C
	v_lshlrev_b32_e32 v20, 2, v20                              // 000000004968: 24282882
	v_lshrrev_b32_e32 v28, 5, v0                               // 00000000496C: 20380085
	v_mul_i32_i24_e32 v17, 64, v28                             // 000000004970: 0C2238C0
	v_and_b32_e32 v28, 31, v0                                  // 000000004974: 2638009F
	v_and_b32_e32 v28, 3, v28                                  // 000000004978: 26383883
	v_and_b32_e32 v29, 1, v28                                  // 00000000497C: 263A3881
	v_mul_i32_i24_e32 v29, 4, v29                              // 000000004980: 0C3A3A84
	v_add_u32_e32 v17, v29, v17                                // 000000004984: 6822231D
	v_and_b32_e32 v29, 2, v28                                  // 000000004988: 263A3882
	v_mul_i32_i24_e32 v29, 0x44, v29                           // 00000000498C: 0C3A3AFF 00000044
	v_add_u32_e32 v17, v29, v17                                // 000000004994: 6822231D
	v_and_b32_e32 v28, 31, v0                                  // 000000004998: 2638009F
	v_lshrrev_b32_e32 v28, 2, v28                              // 00000000499C: 20383882
	v_lshrrev_b32_e32 v30, 2, v28                              // 0000000049A0: 203C3882
	v_mul_i32_i24_e32 v29, 16, v30                             // 0000000049A4: 0C3A3C90
	v_add_u32_e32 v17, v29, v17                                // 0000000049A8: 6822231D
	v_and_b32_e32 v29, 2, v28                                  // 0000000049AC: 263A3882
	v_lshlrev_b32_e32 v29, 4, v29                              // 0000000049B0: 243A3A84
	v_add_u32_e32 v17, v29, v17                                // 0000000049B4: 6822231D
	v_and_b32_e32 v29, 1, v28                                  // 0000000049B8: 263A3881
	v_xor_b32_e32 v29, v30, v29                                // 0000000049BC: 2A3A3B1E
	v_mul_i32_i24_e32 v29, 8, v29                              // 0000000049C0: 0C3A3A88
	v_add_u32_e32 v17, v29, v17                                // 0000000049C4: 6822231D
	v_lshlrev_b32_e32 v17, 2, v17                              // 0000000049C8: 24222282
	v_lshrrev_b32_e32 v28, 5, v0                               // 0000000049CC: 20380085
	v_mul_i32_i24_e32 v18, 32, v28                             // 0000000049D0: 0C2438A0
	v_and_b32_e32 v28, 31, v0                                  // 0000000049D4: 2638009F
	v_and_b32_e32 v28, 3, v28                                  // 0000000049D8: 26383883
	v_and_b32_e32 v29, 1, v28                                  // 0000000049DC: 263A3881
	v_mul_i32_i24_e32 v29, 4, v29                              // 0000000049E0: 0C3A3A84
	v_add_u32_e32 v18, v29, v18                                // 0000000049E4: 6824251D
	v_and_b32_e32 v29, 2, v28                                  // 0000000049E8: 263A3882
	v_lshrrev_b32_e32 v29, 1, v29                              // 0000000049EC: 203A3A81
	v_add_u32_e32 v18, v29, v18                                // 0000000049F0: 6824251D
	v_and_b32_e32 v28, 31, v0                                  // 0000000049F4: 2638009F
	v_lshrrev_b32_e32 v28, 2, v28                              // 0000000049F8: 20383882
	v_and_b32_e32 v30, 1, v28                                  // 0000000049FC: 263C3881
	v_mul_i32_i24_e32 v29, 16, v30                             // 000000004A00: 0C3A3C90
	v_add_u32_e32 v18, v29, v18                                // 000000004A04: 6824251D
	v_and_b32_e32 v29, 2, v28                                  // 000000004A08: 263A3882
	v_add_u32_e32 v18, v29, v18                                // 000000004A0C: 6824251D
	v_lshrrev_b32_e32 v29, 2, v28                              // 000000004A10: 203A3882
	v_xor_b32_e32 v29, v30, v29                                // 000000004A14: 2A3A3B1E
	v_mul_i32_i24_e32 v29, 8, v29                              // 000000004A18: 0C3A3A88
	v_add_u32_e32 v18, v29, v18                                // 000000004A1C: 6824251D
	s_and_b32 s60, 1, s46                                      // 000000004A20: 863C2E81
	s_mul_i32 s60, s60, 64                                     // 000000004A24: 923CC03C
	s_lshr_b32 s61, s46, 1                                     // 000000004A28: 8F3D812E
	s_mul_i32 s61, s61, 0x120                                  // 000000004A2C: 923DFF3D 00000120
	s_add_u32 s60, s60, s61                                    // 000000004A34: 803C3D3C
	v_add_u32_e32 v18, s60, v18                                // 000000004A38: 6824243C
	v_lshlrev_b32_e32 v18, 2, v18                              // 000000004A3C: 24242482
	buffer_load_dword v160, v1, s[12:15], 0 idxen              // 000000004A40: E0502000 8003A001
	buffer_load_dword v161, v2, s[12:15], 0 idxen              // 000000004A48: E0502000 8003A102
	buffer_load_dword v162, v1, s[12:15], 0 idxen offset:128   // 000000004A50: E0502080 8003A201
	buffer_load_dword v163, v2, s[12:15], 0 idxen offset:128   // 000000004A58: E0502080 8003A302
	v_mov_b32_e32 v164, 0                                      // 000000004A60: 7F480280
	s_mov_b64 exec, s[78:79]                                   // 000000004A64: BEFE014E
	buffer_load_dword v164, v1, s[12:15], 0 idxen offset:256   // 000000004A68: E0502100 8003A401
	s_mov_b64 exec, s[84:85]                                   // 000000004A70: BEFE0154
	v_mov_b32_e32 v165, 0                                      // 000000004A74: 7F4A0280
	s_mov_b64 exec, s[78:79]                                   // 000000004A78: BEFE014E
	buffer_load_dword v165, v2, s[12:15], 0 idxen offset:256   // 000000004A7C: E0502100 8003A502
	s_mov_b64 exec, s[84:85]                                   // 000000004A84: BEFE0154
	s_mul_i32 s60, 4, s6                                       // 000000004A88: 923C0684
	v_add_u32_e32 v1, s60, v1                                  // 000000004A8C: 6802023C
	v_add_u32_e32 v2, s60, v2                                  // 000000004A90: 6804043C
	buffer_load_dword v166, v1, s[12:15], 0 idxen              // 000000004A94: E0502000 8003A601
	buffer_load_dword v167, v2, s[12:15], 0 idxen              // 000000004A9C: E0502000 8003A702
	buffer_load_dword v168, v1, s[12:15], 0 idxen offset:128   // 000000004AA4: E0502080 8003A801
	buffer_load_dword v169, v2, s[12:15], 0 idxen offset:128   // 000000004AAC: E0502080 8003A902
	v_mov_b32_e32 v170, 0                                      // 000000004AB4: 7F540280
	s_mov_b64 exec, s[78:79]                                   // 000000004AB8: BEFE014E
	buffer_load_dword v170, v1, s[12:15], 0 idxen offset:256   // 000000004ABC: E0502100 8003AA01
	s_mov_b64 exec, s[84:85]                                   // 000000004AC4: BEFE0154
	v_mov_b32_e32 v171, 0                                      // 000000004AC8: 7F560280
	s_mov_b64 exec, s[78:79]                                   // 000000004ACC: BEFE014E
	buffer_load_dword v171, v2, s[12:15], 0 idxen offset:256   // 000000004AD0: E0502100 8003AB02
	s_mov_b64 exec, s[84:85]                                   // 000000004AD8: BEFE0154
	s_mul_i32 s60, 4, s6                                       // 000000004ADC: 923C0684
	v_add_u32_e32 v1, s60, v1                                  // 000000004AE0: 6802023C
	v_add_u32_e32 v2, s60, v2                                  // 000000004AE4: 6804043C
	buffer_load_dword v172, v1, s[12:15], 0 idxen              // 000000004AE8: E0502000 8003AC01
	buffer_load_dword v173, v2, s[12:15], 0 idxen              // 000000004AF0: E0502000 8003AD02
	buffer_load_dword v174, v1, s[12:15], 0 idxen offset:128   // 000000004AF8: E0502080 8003AE01
	buffer_load_dword v175, v2, s[12:15], 0 idxen offset:128   // 000000004B00: E0502080 8003AF02
	v_mov_b32_e32 v176, 0                                      // 000000004B08: 7F600280
	s_mov_b64 exec, s[78:79]                                   // 000000004B0C: BEFE014E
	buffer_load_dword v176, v1, s[12:15], 0 idxen offset:256   // 000000004B10: E0502100 8003B001
	s_mov_b64 exec, s[84:85]                                   // 000000004B18: BEFE0154
	v_mov_b32_e32 v177, 0                                      // 000000004B1C: 7F620280
	s_mov_b64 exec, s[78:79]                                   // 000000004B20: BEFE014E
	buffer_load_dword v177, v2, s[12:15], 0 idxen offset:256   // 000000004B24: E0502100 8003B102
	s_mov_b64 exec, s[84:85]                                   // 000000004B2C: BEFE0154
	s_mul_i32 s60, 4, s6                                       // 000000004B30: 923C0684
	v_add_u32_e32 v1, s60, v1                                  // 000000004B34: 6802023C
	v_add_u32_e32 v2, s60, v2                                  // 000000004B38: 6804043C
	buffer_load_dword v178, v1, s[12:15], 0 idxen              // 000000004B3C: E0502000 8003B201
	buffer_load_dword v179, v2, s[12:15], 0 idxen              // 000000004B44: E0502000 8003B302
	buffer_load_dword v180, v1, s[12:15], 0 idxen offset:128   // 000000004B4C: E0502080 8003B401
	buffer_load_dword v181, v2, s[12:15], 0 idxen offset:128   // 000000004B54: E0502080 8003B502
	v_mov_b32_e32 v182, 0                                      // 000000004B5C: 7F6C0280
	s_mov_b64 exec, s[78:79]                                   // 000000004B60: BEFE014E
	buffer_load_dword v182, v1, s[12:15], 0 idxen offset:256   // 000000004B64: E0502100 8003B601
	s_mov_b64 exec, s[84:85]                                   // 000000004B6C: BEFE0154
	v_mov_b32_e32 v183, 0                                      // 000000004B70: 7F6E0280
	s_mov_b64 exec, s[78:79]                                   // 000000004B74: BEFE014E
	buffer_load_dword v183, v2, s[12:15], 0 idxen offset:256   // 000000004B78: E0502100 8003B702
	s_mov_b64 exec, s[84:85]                                   // 000000004B80: BEFE0154
	s_mul_i32 s60, 4, s6                                       // 000000004B84: 923C0684
	v_add_u32_e32 v1, s60, v1                                  // 000000004B88: 6802023C
	v_add_u32_e32 v2, s60, v2                                  // 000000004B8C: 6804043C
	s_waitcnt vmcnt(0) lgkmcnt(0)                              // 000000004B90: BF8C0070
	s_barrier                                                  // 000000004B94: BF8A0000
	v_perm_b32 v184, v161, v160, s63                           // 000000004B98: D1ED00B8 00FF41A1
	v_perm_b32 v185, v161, v160, s64                           // 000000004BA0: D1ED00B9 010341A1
	v_perm_b32 v186, v163, v162, s63                           // 000000004BA8: D1ED00BA 00FF45A3
	v_perm_b32 v187, v163, v162, s64                           // 000000004BB0: D1ED00BB 010345A3
	v_perm_b32 v188, v165, v164, s63                           // 000000004BB8: D1ED00BC 00FF49A5
	v_perm_b32 v189, v165, v164, s64                           // 000000004BC0: D1ED00BD 010349A5
	v_perm_b32 v190, v167, v166, s63                           // 000000004BC8: D1ED00BE 00FF4DA7
	v_perm_b32 v191, v167, v166, s64                           // 000000004BD0: D1ED00BF 01034DA7
	v_perm_b32 v192, v169, v168, s63                           // 000000004BD8: D1ED00C0 00FF51A9
	v_perm_b32 v193, v169, v168, s64                           // 000000004BE0: D1ED00C1 010351A9
	v_perm_b32 v194, v171, v170, s63                           // 000000004BE8: D1ED00C2 00FF55AB
	v_perm_b32 v195, v171, v170, s64                           // 000000004BF0: D1ED00C3 010355AB
	v_perm_b32 v196, v173, v172, s63                           // 000000004BF8: D1ED00C4 00FF59AD
	v_perm_b32 v197, v173, v172, s64                           // 000000004C00: D1ED00C5 010359AD
	v_perm_b32 v198, v175, v174, s63                           // 000000004C08: D1ED00C6 00FF5DAF
	v_perm_b32 v199, v175, v174, s64                           // 000000004C10: D1ED00C7 01035DAF
	v_perm_b32 v200, v177, v176, s63                           // 000000004C18: D1ED00C8 00FF61B1
	v_perm_b32 v201, v177, v176, s64                           // 000000004C20: D1ED00C9 010361B1
	v_perm_b32 v202, v179, v178, s63                           // 000000004C28: D1ED00CA 00FF65B3
	v_perm_b32 v203, v179, v178, s64                           // 000000004C30: D1ED00CB 010365B3
	v_perm_b32 v204, v181, v180, s63                           // 000000004C38: D1ED00CC 00FF69B5
	v_perm_b32 v205, v181, v180, s64                           // 000000004C40: D1ED00CD 010369B5
	v_perm_b32 v206, v183, v182, s63                           // 000000004C48: D1ED00CE 00FF6DB7
	v_perm_b32 v207, v183, v182, s64                           // 000000004C50: D1ED00CF 01036DB7
	ds_write_b32 v26, v184 offset:26112                        // 000000004C58: D81A6600 0000B81A
	ds_write_b32 v26, v185 offset:26120                        // 000000004C60: D81A6608 0000B91A
	ds_write_b32 v26, v186 offset:28192                        // 000000004C68: D81A6E20 0000BA1A
	ds_write_b32 v26, v187 offset:28200                        // 000000004C70: D81A6E28 0000BB1A
	ds_write_b32 v26, v188 offset:30272                        // 000000004C78: D81A7640 0000BC1A
	ds_write_b32 v26, v189 offset:30280                        // 000000004C80: D81A7648 0000BD1A
	ds_write_b32 v26, v190 offset:32352                        // 000000004C88: D81A7E60 0000BE1A
	ds_write_b32 v26, v191 offset:32360                        // 000000004C90: D81A7E68 0000BF1A
	ds_write_b32 v26, v192 offset:34432                        // 000000004C98: D81A8680 0000C01A
	ds_write_b32 v26, v193 offset:34440                        // 000000004CA0: D81A8688 0000C11A
	ds_write_b32 v26, v194 offset:36512                        // 000000004CA8: D81A8EA0 0000C21A
	ds_write_b32 v26, v195 offset:36520                        // 000000004CB0: D81A8EA8 0000C31A
	ds_write_b32 v26, v196 offset:38592                        // 000000004CB8: D81A96C0 0000C41A
	ds_write_b32 v26, v197 offset:38600                        // 000000004CC0: D81A96C8 0000C51A
	ds_write_b32 v26, v198 offset:40672                        // 000000004CC8: D81A9EE0 0000C61A
	ds_write_b32 v26, v199 offset:40680                        // 000000004CD0: D81A9EE8 0000C71A
	ds_write_b32 v26, v200 offset:42752                        // 000000004CD8: D81AA700 0000C81A
	ds_write_b32 v26, v201 offset:42760                        // 000000004CE0: D81AA708 0000C91A
	ds_write_b32 v26, v202 offset:44832                        // 000000004CE8: D81AAF20 0000CA1A
	ds_write_b32 v26, v203 offset:44840                        // 000000004CF0: D81AAF28 0000CB1A
	ds_write_b32 v26, v204 offset:46912                        // 000000004CF8: D81AB740 0000CC1A
	ds_write_b32 v26, v205 offset:46920                        // 000000004D00: D81AB748 0000CD1A
	ds_write_b32 v26, v206 offset:48992                        // 000000004D08: D81ABF60 0000CE1A
	ds_write_b32 v26, v207 offset:49000                        // 000000004D10: D81ABF68 0000CF1A
	ds_write_b32 v11, v160                                     // 000000004D18: D81A0000 0000A00B
	ds_write_b32 v11, v161 offset:1056                         // 000000004D20: D81A0420 0000A10B
	ds_write_b32 v11, v162 offset:2176                         // 000000004D28: D81A0880 0000A20B
	ds_write_b32 v11, v163 offset:3232                         // 000000004D30: D81A0CA0 0000A30B
	ds_write_b32 v11, v164 offset:4352                         // 000000004D38: D81A1100 0000A40B
	ds_write_b32 v11, v165 offset:5408                         // 000000004D40: D81A1520 0000A50B
	ds_write_b32 v11, v166 offset:6528                         // 000000004D48: D81A1980 0000A60B
	ds_write_b32 v11, v167 offset:7584                         // 000000004D50: D81A1DA0 0000A70B
	ds_write_b32 v11, v168 offset:8704                         // 000000004D58: D81A2200 0000A80B
	ds_write_b32 v11, v169 offset:9760                         // 000000004D60: D81A2620 0000A90B
	ds_write_b32 v11, v170 offset:10880                        // 000000004D68: D81A2A80 0000AA0B
	ds_write_b32 v11, v171 offset:11936                        // 000000004D70: D81A2EA0 0000AB0B
	ds_write_b32 v11, v172 offset:13056                        // 000000004D78: D81A3300 0000AC0B
	ds_write_b32 v11, v173 offset:14112                        // 000000004D80: D81A3720 0000AD0B
	ds_write_b32 v11, v174 offset:15232                        // 000000004D88: D81A3B80 0000AE0B
	ds_write_b32 v11, v175 offset:16288                        // 000000004D90: D81A3FA0 0000AF0B
	ds_write_b32 v11, v176 offset:17408                        // 000000004D98: D81A4400 0000B00B
	ds_write_b32 v11, v177 offset:18464                        // 000000004DA0: D81A4820 0000B10B
	ds_write_b32 v11, v178 offset:19584                        // 000000004DA8: D81A4C80 0000B20B
	ds_write_b32 v11, v179 offset:20640                        // 000000004DB0: D81A50A0 0000B30B
	ds_write_b32 v11, v180 offset:21760                        // 000000004DB8: D81A5500 0000B40B
	ds_write_b32 v11, v181 offset:22816                        // 000000004DC0: D81A5920 0000B50B
	ds_write_b32 v11, v182 offset:23936                        // 000000004DC8: D81A5D80 0000B60B
	ds_write_b32 v11, v183 offset:24992                        // 000000004DD0: D81A61A0 0000B70B
	s_waitcnt lgkmcnt(0)                                       // 000000004DD8: BF8CC07F
	s_barrier                                                  // 000000004DDC: BF8A0000
	buffer_load_dword v160, v212, s[16:19], 0 idxen            // 000000004DE0: E0502000 8004A0D4
	buffer_load_dword v161, v213, s[16:19], 0 idxen            // 000000004DE8: E0502000 8004A1D5
	buffer_load_dword v162, v212, s[16:19], 0 idxen offset:128 // 000000004DF0: E0502080 8004A2D4
	buffer_load_dword v163, v213, s[16:19], 0 idxen offset:128 // 000000004DF8: E0502080 8004A3D5
	v_mov_b32_e32 v164, 0                                      // 000000004E00: 7F480280
	s_mov_b64 exec, s[78:79]                                   // 000000004E04: BEFE014E
	buffer_load_dword v164, v212, s[16:19], 0 idxen offset:256 // 000000004E08: E0502100 8004A4D4
	s_mov_b64 exec, s[84:85]                                   // 000000004E10: BEFE0154
	v_mov_b32_e32 v165, 0                                      // 000000004E14: 7F4A0280
	s_mov_b64 exec, s[78:79]                                   // 000000004E18: BEFE014E
	buffer_load_dword v165, v213, s[16:19], 0 idxen offset:256 // 000000004E1C: E0502100 8004A5D5
	s_mov_b64 exec, s[84:85]                                   // 000000004E24: BEFE0154
	s_mul_i32 s60, 4, s7                                       // 000000004E28: 923C0784
	v_add_u32_e32 v212, s60, v212                              // 000000004E2C: 69A9A83C
	v_add_u32_e32 v213, s60, v213                              // 000000004E30: 69ABAA3C
	buffer_load_dword v166, v212, s[16:19], 0 idxen            // 000000004E34: E0502000 8004A6D4
	buffer_load_dword v167, v213, s[16:19], 0 idxen            // 000000004E3C: E0502000 8004A7D5
	buffer_load_dword v168, v212, s[16:19], 0 idxen offset:128 // 000000004E44: E0502080 8004A8D4
	buffer_load_dword v169, v213, s[16:19], 0 idxen offset:128 // 000000004E4C: E0502080 8004A9D5
	v_mov_b32_e32 v170, 0                                      // 000000004E54: 7F540280
	s_mov_b64 exec, s[78:79]                                   // 000000004E58: BEFE014E
	buffer_load_dword v170, v212, s[16:19], 0 idxen offset:256 // 000000004E5C: E0502100 8004AAD4
	s_mov_b64 exec, s[84:85]                                   // 000000004E64: BEFE0154
	v_mov_b32_e32 v171, 0                                      // 000000004E68: 7F560280
	s_mov_b64 exec, s[78:79]                                   // 000000004E6C: BEFE014E
	buffer_load_dword v171, v213, s[16:19], 0 idxen offset:256 // 000000004E70: E0502100 8004ABD5
	s_mov_b64 exec, s[84:85]                                   // 000000004E78: BEFE0154
	s_mul_i32 s60, 4, s7                                       // 000000004E7C: 923C0784
	v_add_u32_e32 v212, s60, v212                              // 000000004E80: 69A9A83C
	v_add_u32_e32 v213, s60, v213                              // 000000004E84: 69ABAA3C
	buffer_load_dword v172, v212, s[16:19], 0 idxen            // 000000004E88: E0502000 8004ACD4
	buffer_load_dword v173, v213, s[16:19], 0 idxen            // 000000004E90: E0502000 8004ADD5
	buffer_load_dword v174, v212, s[16:19], 0 idxen offset:128 // 000000004E98: E0502080 8004AED4
	buffer_load_dword v175, v213, s[16:19], 0 idxen offset:128 // 000000004EA0: E0502080 8004AFD5
	v_mov_b32_e32 v176, 0                                      // 000000004EA8: 7F600280
	s_mov_b64 exec, s[78:79]                                   // 000000004EAC: BEFE014E
	buffer_load_dword v176, v212, s[16:19], 0 idxen offset:256 // 000000004EB0: E0502100 8004B0D4
	s_mov_b64 exec, s[84:85]                                   // 000000004EB8: BEFE0154
	v_mov_b32_e32 v177, 0                                      // 000000004EBC: 7F620280
	s_mov_b64 exec, s[78:79]                                   // 000000004EC0: BEFE014E
	buffer_load_dword v177, v213, s[16:19], 0 idxen offset:256 // 000000004EC4: E0502100 8004B1D5
	s_mov_b64 exec, s[84:85]                                   // 000000004ECC: BEFE0154
	s_mul_i32 s60, 4, s7                                       // 000000004ED0: 923C0784
	v_add_u32_e32 v212, s60, v212                              // 000000004ED4: 69A9A83C
	v_add_u32_e32 v213, s60, v213                              // 000000004ED8: 69ABAA3C
	buffer_load_dword v178, v212, s[16:19], 0 idxen            // 000000004EDC: E0502000 8004B2D4
	buffer_load_dword v179, v213, s[16:19], 0 idxen            // 000000004EE4: E0502000 8004B3D5
	buffer_load_dword v180, v212, s[16:19], 0 idxen offset:128 // 000000004EEC: E0502080 8004B4D4
	buffer_load_dword v181, v213, s[16:19], 0 idxen offset:128 // 000000004EF4: E0502080 8004B5D5
	v_mov_b32_e32 v182, 0                                      // 000000004EFC: 7F6C0280
	s_mov_b64 exec, s[78:79]                                   // 000000004F00: BEFE014E
	buffer_load_dword v182, v212, s[16:19], 0 idxen offset:256 // 000000004F04: E0502100 8004B6D4
	s_mov_b64 exec, s[84:85]                                   // 000000004F0C: BEFE0154
	v_mov_b32_e32 v183, 0                                      // 000000004F10: 7F6E0280
	s_mov_b64 exec, s[78:79]                                   // 000000004F14: BEFE014E
	buffer_load_dword v183, v213, s[16:19], 0 idxen offset:256 // 000000004F18: E0502100 8004B7D5
	s_mov_b64 exec, s[84:85]                                   // 000000004F20: BEFE0154
	s_mul_i32 s60, 4, s7                                       // 000000004F24: 923C0784
	v_add_u32_e32 v212, s60, v212                              // 000000004F28: 69A9A83C
	v_add_u32_e32 v213, s60, v213                              // 000000004F2C: 69ABAA3C
	ds_read_b64 a[24:25], v23 offset:26112                     // 000000004F30: DAEC6600 18000017
	ds_read_b64 a[26:27], v23 offset:26632                     // 000000004F38: DAEC6808 1A000017
	ds_read_b64 a[28:29], v23 offset:27152                     // 000000004F40: DAEC6A10 1C000017
	ds_read_b64 a[30:31], v23 offset:26368                     // 000000004F48: DAEC6700 1E000017
	ds_read_b64 a[32:33], v23 offset:26888                     // 000000004F50: DAEC6908 20000017
	ds_read_b64 a[34:35], v23 offset:27408                     // 000000004F58: DAEC6B10 22000017
	ds_read_b64 a[36:37], v23 offset:38592                     // 000000004F60: DAEC96C0 24000017
	ds_read_b64 a[38:39], v23 offset:39112                     // 000000004F68: DAEC98C8 26000017
	ds_read_b64 a[40:41], v23 offset:39632                     // 000000004F70: DAEC9AD0 28000017
	ds_read_b64 a[42:43], v23 offset:38848                     // 000000004F78: DAEC97C0 2A000017
	ds_read_b64 a[44:45], v23 offset:39368                     // 000000004F80: DAEC99C8 2C000017
	ds_read_b64 a[46:47], v23 offset:39888                     // 000000004F88: DAEC9BD0 2E000017
	ds_read_b128 a[0:3], v22                                   // 000000004F90: DBFE0000 00000016
	ds_read_b128 a[4:7], v22 offset:512                        // 000000004F98: DBFE0200 04000016
	ds_read_b128 a[8:11], v22 offset:2176                      // 000000004FA0: DBFE0880 08000016
	ds_read_b128 a[12:15], v22 offset:2688                     // 000000004FA8: DBFE0A80 0C000016
	ds_read_b128 a[16:19], v22 offset:4352                     // 000000004FB0: DBFE1100 10000016
	ds_read_b128 a[20:23], v22 offset:4864                     // 000000004FB8: DBFE1300 14000016
	s_waitcnt vmcnt(0) lgkmcnt(0)                              // 000000004FC0: BF8C0070
	s_barrier                                                  // 000000004FC4: BF8A0000
	ds_write_b32 v11, v160                                     // 000000004FC8: D81A0000 0000A00B
	ds_write_b32 v11, v161 offset:1056                         // 000000004FD0: D81A0420 0000A10B
	ds_write_b32 v11, v162 offset:2176                         // 000000004FD8: D81A0880 0000A20B
	ds_write_b32 v11, v163 offset:3232                         // 000000004FE0: D81A0CA0 0000A30B
	ds_write_b32 v11, v164 offset:4352                         // 000000004FE8: D81A1100 0000A40B
	ds_write_b32 v11, v165 offset:5408                         // 000000004FF0: D81A1520 0000A50B
	ds_write_b32 v11, v166 offset:6528                         // 000000004FF8: D81A1980 0000A60B
	ds_write_b32 v11, v167 offset:7584                         // 000000005000: D81A1DA0 0000A70B
	ds_write_b32 v11, v168 offset:8704                         // 000000005008: D81A2200 0000A80B
	ds_write_b32 v11, v169 offset:9760                         // 000000005010: D81A2620 0000A90B
	ds_write_b32 v11, v170 offset:10880                        // 000000005018: D81A2A80 0000AA0B
	ds_write_b32 v11, v171 offset:11936                        // 000000005020: D81A2EA0 0000AB0B
	ds_write_b32 v11, v172 offset:13056                        // 000000005028: D81A3300 0000AC0B
	ds_write_b32 v11, v173 offset:14112                        // 000000005030: D81A3720 0000AD0B
	ds_write_b32 v11, v174 offset:15232                        // 000000005038: D81A3B80 0000AE0B
	ds_write_b32 v11, v175 offset:16288                        // 000000005040: D81A3FA0 0000AF0B
	ds_write_b32 v11, v176 offset:17408                        // 000000005048: D81A4400 0000B00B
	ds_write_b32 v11, v177 offset:18464                        // 000000005050: D81A4820 0000B10B
	ds_write_b32 v11, v178 offset:19584                        // 000000005058: D81A4C80 0000B20B
	ds_write_b32 v11, v179 offset:20640                        // 000000005060: D81A50A0 0000B30B
	ds_write_b32 v11, v180 offset:21760                        // 000000005068: D81A5500 0000B40B
	ds_write_b32 v11, v181 offset:22816                        // 000000005070: D81A5920 0000B50B
	ds_write_b32 v11, v182 offset:23936                        // 000000005078: D81A5D80 0000B60B
	ds_write_b32 v11, v183 offset:24992                        // 000000005080: D81A61A0 0000B70B
	s_mov_b32 s71, s5                                          // 000000005088: BEC70005
	v_lshrrev_b32_e32 v28, 4, v0                               // 00000000508C: 20380084
	v_and_b32_e32 v29, 1, v28                                  // 000000005090: 263A3881
	v_lshlrev_b32_e32 v29, 1, v29                              // 000000005094: 243A3A81
	v_mul_i32_i24_e32 v29, s71, v29                            // 000000005098: 0C3A3A47
	v_and_b32_e32 v30, 2, v28                                  // 00000000509C: 263C3882
	v_lshlrev_b32_e32 v30, 5, v30                              // 0000000050A0: 243C3C85
	v_add_u32_e32 v29, v30, v29                                // 0000000050A4: 683A3B1E
	v_and_b32_e32 v28, 15, v0                                  // 0000000050A8: 2638008F
	v_lshlrev_b32_e32 v28, 2, v28                              // 0000000050AC: 24383882
	v_add_u32_e32 v1, v28, v29                                 // 0000000050B0: 68023B1C
	s_mul_i32 s60, s46, s71                                    // 0000000050B4: 923C472E
	s_mul_i32 s60, s60, 4                                      // 0000000050B8: 923C843C
	v_add_u32_e32 v1, s60, v1                                  // 0000000050BC: 6802023C
	v_add_u32_e32 v2, s71, v1                                  // 0000000050C0: 68040247
	s_mov_b32 s71, s51                                         // 0000000050C4: BEC70033
	v_lshrrev_b32_e32 v28, 4, v0                               // 0000000050C8: 20380084
	v_and_b32_e32 v29, 1, v28                                  // 0000000050CC: 263A3881
	v_lshlrev_b32_e32 v29, 1, v29                              // 0000000050D0: 243A3A81
	v_mul_i32_i24_e32 v29, s71, v29                            // 0000000050D4: 0C3A3A47
	v_and_b32_e32 v30, 2, v28                                  // 0000000050D8: 263C3882
	v_lshlrev_b32_e32 v30, 5, v30                              // 0000000050DC: 243C3C85
	v_add_u32_e32 v29, v30, v29                                // 0000000050E0: 683A3B1E
	v_and_b32_e32 v28, 15, v0                                  // 0000000050E4: 2638008F
	v_lshlrev_b32_e32 v28, 2, v28                              // 0000000050E8: 24383882
	v_add_u32_e32 v212, v28, v29                               // 0000000050EC: 69A83B1C
	s_mul_i32 s60, s46, s71                                    // 0000000050F0: 923C472E
	s_mul_i32 s60, s60, 4                                      // 0000000050F4: 923C843C
	v_add_u32_e32 v212, s60, v212                              // 0000000050F8: 69A9A83C
	v_add_u32_e32 v213, s71, v212                              // 0000000050FC: 69ABA847
	v_lshrrev_b32_e32 v1, 2, v1                                // 000000005100: 20020282
	v_lshrrev_b32_e32 v2, 2, v2                                // 000000005104: 20040482
	v_lshrrev_b32_e32 v212, 2, v212                            // 000000005108: 21A9A882
	v_lshrrev_b32_e32 v213, 2, v213                            // 00000000510C: 21ABAA82
	buffer_load_dword v32, v1, s[8:11], 0 idxen                // 000000005110: E0502000 80022001
	buffer_load_dword v33, v2, s[8:11], 0 idxen                // 000000005118: E0502000 80022102
	buffer_load_dword v34, v1, s[8:11], 0 idxen offset:128     // 000000005120: E0502080 80022201
	buffer_load_dword v35, v2, s[8:11], 0 idxen offset:128     // 000000005128: E0502080 80022302
	v_mov_b32_e32 v36, 0                                       // 000000005130: 7E480280
	s_mov_b64 exec, s[78:79]                                   // 000000005134: BEFE014E
	buffer_load_dword v36, v1, s[8:11], 0 idxen offset:256     // 000000005138: E0502100 80022401
	s_mov_b64 exec, s[84:85]                                   // 000000005140: BEFE0154
	v_mov_b32_e32 v37, 0                                       // 000000005144: 7E4A0280
	s_mov_b64 exec, s[78:79]                                   // 000000005148: BEFE014E
	buffer_load_dword v37, v2, s[8:11], 0 idxen offset:256     // 00000000514C: E0502100 80022502
	s_mov_b64 exec, s[84:85]                                   // 000000005154: BEFE0154
	buffer_load_dword v44, v212, s[20:23], 0 idxen             // 000000005158: E0502000 80052CD4
	buffer_load_dword v45, v213, s[20:23], 0 idxen             // 000000005160: E0502000 80052DD5
	buffer_load_dword v46, v212, s[20:23], 0 idxen offset:128  // 000000005168: E0502080 80052ED4
	buffer_load_dword v47, v213, s[20:23], 0 idxen offset:128  // 000000005170: E0502080 80052FD5
	v_mov_b32_e32 v48, 0                                       // 000000005178: 7E600280
	s_mov_b64 exec, s[78:79]                                   // 00000000517C: BEFE014E
	buffer_load_dword v48, v212, s[20:23], 0 idxen offset:256  // 000000005180: E0502100 800530D4
	s_mov_b64 exec, s[84:85]                                   // 000000005188: BEFE0154
	v_mov_b32_e32 v49, 0                                       // 00000000518C: 7E620280
	s_mov_b64 exec, s[78:79]                                   // 000000005190: BEFE014E
	buffer_load_dword v49, v213, s[20:23], 0 idxen offset:256  // 000000005194: E0502100 800531D5
	s_mov_b64 exec, s[84:85]                                   // 00000000519C: BEFE0154
	s_waitcnt lgkmcnt(0)                                       // 0000000051A0: BF8CC07F
	s_barrier                                                  // 0000000051A4: BF8A0000
	ds_read_b128 a[48:51], v22                                 // 0000000051A8: DBFE0000 30000016
	ds_read_b128 a[52:55], v22 offset:512                      // 0000000051B0: DBFE0200 34000016
	ds_read_b128 a[56:59], v22 offset:2176                     // 0000000051B8: DBFE0880 38000016
	ds_read_b128 a[60:63], v22 offset:2688                     // 0000000051C0: DBFE0A80 3C000016
	ds_read_b128 a[64:67], v22 offset:4352                     // 0000000051C8: DBFE1100 40000016
	ds_read_b128 a[68:71], v22 offset:4864                     // 0000000051D0: DBFE1300 44000016
	v_add_u32_e32 v1, s68, v1                                  // 0000000051D8: 68020244
	v_add_u32_e32 v2, s68, v2                                  // 0000000051DC: 68040444
	v_add_u32_e32 v212, s101, v212                             // 0000000051E0: 69A9A865
	v_add_u32_e32 v213, s101, v213                             // 0000000051E4: 69ABAA65
	buffer_load_dword v38, v1, s[8:11], 0 idxen                // 0000000051E8: E0502000 80022601
	buffer_load_dword v39, v2, s[8:11], 0 idxen                // 0000000051F0: E0502000 80022702
	buffer_load_dword v40, v1, s[8:11], 0 idxen offset:128     // 0000000051F8: E0502080 80022801
	buffer_load_dword v41, v2, s[8:11], 0 idxen offset:128     // 000000005200: E0502080 80022902
	v_mov_b32_e32 v42, 0                                       // 000000005208: 7E540280
	s_mov_b64 exec, s[78:79]                                   // 00000000520C: BEFE014E
	buffer_load_dword v42, v1, s[8:11], 0 idxen offset:256     // 000000005210: E0502100 80022A01
	s_mov_b64 exec, s[84:85]                                   // 000000005218: BEFE0154
	v_mov_b32_e32 v43, 0                                       // 00000000521C: 7E560280
	s_mov_b64 exec, s[78:79]                                   // 000000005220: BEFE014E
	buffer_load_dword v43, v2, s[8:11], 0 idxen offset:256     // 000000005224: E0502100 80022B02
	s_mov_b64 exec, s[84:85]                                   // 00000000522C: BEFE0154
	buffer_load_dword v50, v212, s[20:23], 0 idxen             // 000000005230: E0502000 800532D4
	buffer_load_dword v51, v213, s[20:23], 0 idxen             // 000000005238: E0502000 800533D5
	buffer_load_dword v52, v212, s[20:23], 0 idxen offset:128  // 000000005240: E0502080 800534D4
	buffer_load_dword v53, v213, s[20:23], 0 idxen offset:128  // 000000005248: E0502080 800535D5
	v_mov_b32_e32 v54, 0                                       // 000000005250: 7E6C0280
	s_mov_b64 exec, s[78:79]                                   // 000000005254: BEFE014E
	buffer_load_dword v54, v212, s[20:23], 0 idxen offset:256  // 000000005258: E0502100 800536D4
	s_mov_b64 exec, s[84:85]                                   // 000000005260: BEFE0154
	v_mov_b32_e32 v55, 0                                       // 000000005264: 7E6E0280
	s_mov_b64 exec, s[78:79]                                   // 000000005268: BEFE014E
	buffer_load_dword v55, v213, s[20:23], 0 idxen offset:256  // 00000000526C: E0502100 800537D5
	s_mov_b64 exec, s[84:85]                                   // 000000005274: BEFE0154
	v_add_u32_e32 v1, s68, v1                                  // 000000005278: 68020244
	v_add_u32_e32 v2, s68, v2                                  // 00000000527C: 68040444
	v_add_u32_e32 v212, s101, v212                             // 000000005280: 69A9A865
	v_add_u32_e32 v213, s101, v213                             // 000000005284: 69ABAA65
	s_waitcnt vmcnt(12) lgkmcnt(0)                             // 000000005288: BF8C007C
	s_barrier                                                  // 00000000528C: BF8A0000
	buffer_load_dword v9, s[24:27], 0 idxen lds                // 000000005290: E0512000 80060009
	s_mov_b32 m0, s77                                          // 000000005298: BEFC004D
	v_add_u32_e32 v9, s69, v9                                  // 00000000529C: 68121245
	v_perm_b32 v68, v33, v32, s63                              // 0000000052A0: D1ED0044 00FE4121
	v_perm_b32 v69, v33, v32, s64                              // 0000000052A8: D1ED0045 01024121
	v_perm_b32 v70, v35, v34, s63                              // 0000000052B0: D1ED0046 00FE4523
	v_perm_b32 v71, v35, v34, s64                              // 0000000052B8: D1ED0047 01024523
	v_perm_b32 v72, v37, v36, s63                              // 0000000052C0: D1ED0048 00FE4925
	v_perm_b32 v73, v37, v36, s64                              // 0000000052C8: D1ED0049 01024925
	ds_write_b32 v13, v68 offset:6528                          // 0000000052D0: D81A1980 0000440D
	ds_write_b32 v13, v69 offset:7584                          // 0000000052D8: D81A1DA0 0000450D
	ds_write_b32 v13, v70 offset:8704                          // 0000000052E0: D81A2200 0000460D
	ds_write_b32 v13, v71 offset:9760                          // 0000000052E8: D81A2620 0000470D
	ds_write_b32 v13, v72 offset:10880                         // 0000000052F0: D81A2A80 0000480D
	ds_write_b32 v13, v73 offset:11936                         // 0000000052F8: D81A2EA0 0000490D
	ds_write_b32 v11, v32                                      // 000000005300: D81A0000 0000200B
	ds_write_b32 v11, v33 offset:1056                          // 000000005308: D81A0420 0000210B
	ds_write_b32 v11, v34 offset:2176                          // 000000005310: D81A0880 0000220B
	ds_write_b32 v11, v35 offset:3232                          // 000000005318: D81A0CA0 0000230B
	ds_write_b32 v11, v36 offset:4352                          // 000000005320: D81A1100 0000240B
	ds_write_b32 v11, v37 offset:5408                          // 000000005328: D81A1520 0000250B
	buffer_load_dword v9, s[24:27], 0 idxen lds                // 000000005330: E0512000 80060009
	s_mov_b32 m0, s76                                          // 000000005338: BEFC004C
	v_add_u32_e32 v9, s69, v9                                  // 00000000533C: 68121245
	v_perm_b32 v74, v45, v44, s63                              // 000000005340: D1ED004A 00FE592D
	v_perm_b32 v75, v45, v44, s64                              // 000000005348: D1ED004B 0102592D
	v_perm_b32 v76, v47, v46, s63                              // 000000005350: D1ED004C 00FE5D2F
	v_perm_b32 v77, v47, v46, s64                              // 000000005358: D1ED004D 01025D2F
	v_perm_b32 v78, v49, v48, s63                              // 000000005360: D1ED004E 00FE6131
	v_perm_b32 v79, v49, v48, s64                              // 000000005368: D1ED004F 01026131
	ds_write_b32 v13, v74 offset:19584                         // 000000005370: D81A4C80 00004A0D
	ds_write_b32 v13, v75 offset:20640                         // 000000005378: D81A50A0 00004B0D
	ds_write_b32 v13, v76 offset:21760                         // 000000005380: D81A5500 00004C0D
	ds_write_b32 v13, v77 offset:22816                         // 000000005388: D81A5920 00004D0D
	ds_write_b32 v13, v78 offset:23936                         // 000000005390: D81A5D80 00004E0D
	ds_write_b32 v13, v79 offset:24992                         // 000000005398: D81A61A0 00004F0D
	ds_write_b32 v11, v44 offset:13056                         // 0000000053A0: D81A3300 00002C0B
	ds_write_b32 v11, v45 offset:14112                         // 0000000053A8: D81A3720 00002D0B
	ds_write_b32 v11, v46 offset:15232                         // 0000000053B0: D81A3B80 00002E0B
	ds_write_b32 v11, v47 offset:16288                         // 0000000053B8: D81A3FA0 00002F0B
	ds_write_b32 v11, v48 offset:17408                         // 0000000053C0: D81A4400 0000300B
	ds_write_b32 v11, v49 offset:18464                         // 0000000053C8: D81A4820 0000310B
	s_waitcnt vmcnt(1) lgkmcnt(0)                              // 0000000053D0: BF8C0071
	s_barrier                                                  // 0000000053D4: BF8A0000
	ds_read_b128 a[72:75], v10                                 // 0000000053D8: DBFE0000 4800000A
	ds_read_b128 a[76:79], v10 offset:512                      // 0000000053E0: DBFE0200 4C00000A
	ds_read_b128 a[80:83], v10 offset:2176                     // 0000000053E8: DBFE0880 5000000A
	ds_read_b128 a[84:87], v10 offset:2688                     // 0000000053F0: DBFE0A80 5400000A
	ds_read_b128 a[88:91], v10 offset:4352                     // 0000000053F8: DBFE1100 5800000A
	ds_read_b128 a[92:95], v10 offset:4864                     // 000000005400: DBFE1300 5C00000A
	ds_read_b128 v[80:83], v10 offset:13056                    // 000000005408: D9FE3300 5000000A
	ds_read_b128 v[84:87], v10 offset:13568                    // 000000005410: D9FE3500 5400000A
	ds_read_b128 v[88:91], v10 offset:15232                    // 000000005418: D9FE3B80 5800000A
	ds_read_b128 v[92:95], v10 offset:15744                    // 000000005420: D9FE3D80 5C00000A
	ds_read_b128 v[96:99], v10 offset:17408                    // 000000005428: D9FE4400 6000000A
	ds_read_b128 v[100:103], v10 offset:17920                  // 000000005430: D9FE4600 6400000A
	ds_read_b32 v128, v21 offset:40704                         // 000000005438: D86C9F00 80000015
	ds_read_b32 v158, v21 offset:40960                         // 000000005440: D86CA000 9E000015
	v_accvgpr_write_b32 a96, 0                                 // 000000005448: D3D94060 18000080
	v_mov_b32_e32 v160, 0                                      // 000000005450: 7F400280
	v_accvgpr_write_b32 a97, 0                                 // 000000005454: D3D94061 18000080
	v_mov_b32_e32 v161, 0                                      // 00000000545C: 7F420280
	v_accvgpr_write_b32 a98, 0                                 // 000000005460: D3D94062 18000080
	v_mov_b32_e32 v162, 0                                      // 000000005468: 7F440280
	v_accvgpr_write_b32 a99, 0                                 // 00000000546C: D3D94063 18000080
	v_mov_b32_e32 v163, 0                                      // 000000005474: 7F460280
	v_accvgpr_write_b32 a100, 0                                // 000000005478: D3D94064 18000080
	v_mov_b32_e32 v164, 0                                      // 000000005480: 7F480280
	v_accvgpr_write_b32 a101, 0                                // 000000005484: D3D94065 18000080
	v_mov_b32_e32 v165, 0                                      // 00000000548C: 7F4A0280
	v_accvgpr_write_b32 a102, 0                                // 000000005490: D3D94066 18000080
	v_mov_b32_e32 v166, 0                                      // 000000005498: 7F4C0280
	v_accvgpr_write_b32 a103, 0                                // 00000000549C: D3D94067 18000080
	v_mov_b32_e32 v167, 0                                      // 0000000054A4: 7F4E0280
	v_accvgpr_write_b32 a104, 0                                // 0000000054A8: D3D94068 18000080
	v_mov_b32_e32 v168, 0                                      // 0000000054B0: 7F500280
	v_accvgpr_write_b32 a105, 0                                // 0000000054B4: D3D94069 18000080
	v_mov_b32_e32 v169, 0                                      // 0000000054BC: 7F520280
	v_accvgpr_write_b32 a106, 0                                // 0000000054C0: D3D9406A 18000080
	v_mov_b32_e32 v170, 0                                      // 0000000054C8: 7F540280
	v_accvgpr_write_b32 a107, 0                                // 0000000054CC: D3D9406B 18000080
	v_mov_b32_e32 v171, 0                                      // 0000000054D4: 7F560280
	v_accvgpr_write_b32 a108, 0                                // 0000000054D8: D3D9406C 18000080
	v_mov_b32_e32 v172, 0                                      // 0000000054E0: 7F580280
	v_accvgpr_write_b32 a109, 0                                // 0000000054E4: D3D9406D 18000080
	v_mov_b32_e32 v173, 0                                      // 0000000054EC: 7F5A0280
	v_accvgpr_write_b32 a110, 0                                // 0000000054F0: D3D9406E 18000080
	v_mov_b32_e32 v174, 0                                      // 0000000054F8: 7F5C0280
	v_accvgpr_write_b32 a111, 0                                // 0000000054FC: D3D9406F 18000080
	v_mov_b32_e32 v175, 0                                      // 000000005504: 7F5E0280
	v_accvgpr_write_b32 a112, 0                                // 000000005508: D3D94070 18000080
	v_mov_b32_e32 v176, 0                                      // 000000005510: 7F600280
	v_accvgpr_write_b32 a113, 0                                // 000000005514: D3D94071 18000080
	v_mov_b32_e32 v177, 0                                      // 00000000551C: 7F620280
	v_accvgpr_write_b32 a114, 0                                // 000000005520: D3D94072 18000080
	v_mov_b32_e32 v178, 0                                      // 000000005528: 7F640280
	v_accvgpr_write_b32 a115, 0                                // 00000000552C: D3D94073 18000080
	v_mov_b32_e32 v179, 0                                      // 000000005534: 7F660280
	v_accvgpr_write_b32 a116, 0                                // 000000005538: D3D94074 18000080
	v_mov_b32_e32 v180, 0                                      // 000000005540: 7F680280
	v_accvgpr_write_b32 a117, 0                                // 000000005544: D3D94075 18000080
	v_mov_b32_e32 v181, 0                                      // 00000000554C: 7F6A0280
	v_accvgpr_write_b32 a118, 0                                // 000000005550: D3D94076 18000080
	v_mov_b32_e32 v182, 0                                      // 000000005558: 7F6C0280
	v_accvgpr_write_b32 a119, 0                                // 00000000555C: D3D94077 18000080
	v_mov_b32_e32 v183, 0                                      // 000000005564: 7F6E0280
	v_accvgpr_write_b32 a120, 0                                // 000000005568: D3D94078 18000080
	v_mov_b32_e32 v184, 0                                      // 000000005570: 7F700280
	v_accvgpr_write_b32 a121, 0                                // 000000005574: D3D94079 18000080
	v_mov_b32_e32 v185, 0                                      // 00000000557C: 7F720280
	v_accvgpr_write_b32 a122, 0                                // 000000005580: D3D9407A 18000080
	v_mov_b32_e32 v186, 0                                      // 000000005588: 7F740280
	v_accvgpr_write_b32 a123, 0                                // 00000000558C: D3D9407B 18000080
	v_mov_b32_e32 v187, 0                                      // 000000005594: 7F760280
	v_accvgpr_write_b32 a124, 0                                // 000000005598: D3D9407C 18000080
	v_mov_b32_e32 v188, 0                                      // 0000000055A0: 7F780280
	v_accvgpr_write_b32 a125, 0                                // 0000000055A4: D3D9407D 18000080
	v_mov_b32_e32 v189, 0                                      // 0000000055AC: 7F7A0280
	v_accvgpr_write_b32 a126, 0                                // 0000000055B0: D3D9407E 18000080
	v_mov_b32_e32 v190, 0                                      // 0000000055B8: 7F7C0280
	v_accvgpr_write_b32 a127, 0                                // 0000000055BC: D3D9407F 18000080
	v_mov_b32_e32 v191, 0                                      // 0000000055C4: 7F7E0280
	v_accvgpr_write_b32 a128, 0                                // 0000000055C8: D3D94080 18000080
	v_mov_b32_e32 v192, 0                                      // 0000000055D0: 7F800280
	v_accvgpr_write_b32 a129, 0                                // 0000000055D4: D3D94081 18000080
	v_mov_b32_e32 v193, 0                                      // 0000000055DC: 7F820280
	v_accvgpr_write_b32 a130, 0                                // 0000000055E0: D3D94082 18000080
	v_mov_b32_e32 v194, 0                                      // 0000000055E8: 7F840280
	v_accvgpr_write_b32 a131, 0                                // 0000000055EC: D3D94083 18000080
	v_mov_b32_e32 v195, 0                                      // 0000000055F4: 7F860280
	v_accvgpr_write_b32 a132, 0                                // 0000000055F8: D3D94084 18000080
	v_mov_b32_e32 v196, 0                                      // 000000005600: 7F880280
	v_accvgpr_write_b32 a133, 0                                // 000000005604: D3D94085 18000080
	v_mov_b32_e32 v197, 0                                      // 00000000560C: 7F8A0280
	v_accvgpr_write_b32 a134, 0                                // 000000005610: D3D94086 18000080
	v_mov_b32_e32 v198, 0                                      // 000000005618: 7F8C0280
	v_accvgpr_write_b32 a135, 0                                // 00000000561C: D3D94087 18000080
	v_mov_b32_e32 v199, 0                                      // 000000005624: 7F8E0280
	v_accvgpr_write_b32 a136, 0                                // 000000005628: D3D94088 18000080
	v_mov_b32_e32 v200, 0                                      // 000000005630: 7F900280
	v_accvgpr_write_b32 a137, 0                                // 000000005634: D3D94089 18000080
	v_mov_b32_e32 v201, 0                                      // 00000000563C: 7F920280
	v_accvgpr_write_b32 a138, 0                                // 000000005640: D3D9408A 18000080
	v_mov_b32_e32 v202, 0                                      // 000000005648: 7F940280
	v_accvgpr_write_b32 a139, 0                                // 00000000564C: D3D9408B 18000080
	v_mov_b32_e32 v203, 0                                      // 000000005654: 7F960280
	v_accvgpr_write_b32 a140, 0                                // 000000005658: D3D9408C 18000080
	v_mov_b32_e32 v204, 0                                      // 000000005660: 7F980280
	v_accvgpr_write_b32 a141, 0                                // 000000005664: D3D9408D 18000080
	v_mov_b32_e32 v205, 0                                      // 00000000566C: 7F9A0280
	v_accvgpr_write_b32 a142, 0                                // 000000005670: D3D9408E 18000080
	v_mov_b32_e32 v206, 0                                      // 000000005678: 7F9C0280
	v_accvgpr_write_b32 a143, 0                                // 00000000567C: D3D9408F 18000080
	v_mov_b32_e32 v207, 0                                      // 000000005684: 7F9E0280
	v_mov_b32_e32 v144, 0                                      // 000000005688: 7F200280
	v_mov_b32_e32 v145, 0                                      // 00000000568C: 7F220280
	v_mov_b32_e32 v146, 0                                      // 000000005690: 7F240280
	v_mov_b32_e32 v147, 0                                      // 000000005694: 7F260280
	v_mov_b32_e32 v148, 0                                      // 000000005698: 7F280280
	v_mov_b32_e32 v149, 0                                      // 00000000569C: 7F2A0280
	v_mov_b32_e32 v150, 0                                      // 0000000056A0: 7F2C0280
	v_mov_b32_e32 v151, 0                                      // 0000000056A4: 7F2E0280
	v_mov_b32_e32 v152, 0                                      // 0000000056A8: 7F300280
	v_mov_b32_e32 v153, 0                                      // 0000000056AC: 7F320280
	v_mov_b32_e32 v154, 0                                      // 0000000056B0: 7F340280
	v_mov_b32_e32 v155, 0                                      // 0000000056B4: 7F360280
	v_mov_b32_e32 v132, 0                                      // 0000000056B8: 7F080280
	v_mov_b32_e32 v133, 0                                      // 0000000056BC: 7F0A0280
	v_mov_b32_e32 v134, 0                                      // 0000000056C0: 7F0C0280
	v_mov_b32_e32 v135, 0                                      // 0000000056C4: 7F0E0280
	v_mov_b32_e32 v136, 0                                      // 0000000056C8: 7F100280
	v_mov_b32_e32 v137, 0                                      // 0000000056CC: 7F120280
	v_mov_b32_e32 v138, 0                                      // 0000000056D0: 7F140280
	v_mov_b32_e32 v139, 0                                      // 0000000056D4: 7F160280
	v_mov_b32_e32 v140, 0                                      // 0000000056D8: 7F180280
	v_mov_b32_e32 v141, 0                                      // 0000000056DC: 7F1A0280
	v_mov_b32_e32 v142, 0                                      // 0000000056E0: 7F1C0280
	v_mov_b32_e32 v143, 0                                      // 0000000056E4: 7F1E0280
	s_waitcnt lgkmcnt(0)                                       // 0000000056E8: BF8CC07F
	s_barrier                                                  // 0000000056EC: BF8A0000
	buffer_load_dword v32, v1, s[8:11], 0 idxen                // 0000000056F0: E0502000 80022001
	buffer_load_dword v33, v2, s[8:11], 0 idxen                // 0000000056F8: E0502000 80022102
	buffer_load_dword v34, v1, s[8:11], 0 idxen offset:128     // 000000005700: E0502080 80022201
	buffer_load_dword v35, v2, s[8:11], 0 idxen offset:128     // 000000005708: E0502080 80022302
	v_mov_b32_e32 v36, 0                                       // 000000005710: 7E480280
	s_mov_b64 exec, s[78:79]                                   // 000000005714: BEFE014E
	buffer_load_dword v36, v1, s[8:11], 0 idxen offset:256     // 000000005718: E0502100 80022401
	s_mov_b64 exec, s[84:85]                                   // 000000005720: BEFE0154
	v_mov_b32_e32 v37, 0                                       // 000000005724: 7E4A0280
	s_mov_b64 exec, s[78:79]                                   // 000000005728: BEFE014E
	buffer_load_dword v37, v2, s[8:11], 0 idxen offset:256     // 00000000572C: E0502100 80022502
	s_mov_b64 exec, s[84:85]                                   // 000000005734: BEFE0154
	buffer_load_dword v44, v212, s[20:23], 0 idxen             // 000000005738: E0502000 80052CD4
	buffer_load_dword v45, v213, s[20:23], 0 idxen             // 000000005740: E0502000 80052DD5
	buffer_load_dword v46, v212, s[20:23], 0 idxen offset:128  // 000000005748: E0502080 80052ED4
	buffer_load_dword v47, v213, s[20:23], 0 idxen offset:128  // 000000005750: E0502080 80052FD5
	v_mov_b32_e32 v48, 0                                       // 000000005758: 7E600280
	s_mov_b64 exec, s[78:79]                                   // 00000000575C: BEFE014E
	buffer_load_dword v48, v212, s[20:23], 0 idxen offset:256  // 000000005760: E0502100 800530D4
	s_mov_b64 exec, s[84:85]                                   // 000000005768: BEFE0154
	v_mov_b32_e32 v49, 0                                       // 00000000576C: 7E620280
	s_mov_b64 exec, s[78:79]                                   // 000000005770: BEFE014E
	buffer_load_dword v49, v213, s[20:23], 0 idxen offset:256  // 000000005774: E0502100 800531D5
	s_mov_b64 exec, s[84:85]                                   // 00000000577C: BEFE0154
	buffer_load_dword v9, s[24:27], 0 idxen lds                // 000000005780: E0512000 80060009
	s_mov_b32 m0, s77                                          // 000000005788: BEFC004D
	v_add_u32_e32 v9, s69, v9                                  // 00000000578C: 68121245
	v_add_u32_e32 v1, s68, v1                                  // 000000005790: 68020244
	v_add_u32_e32 v2, s68, v2                                  // 000000005794: 68040444
	v_add_u32_e32 v212, s101, v212                             // 000000005798: 69A9A865
	v_add_u32_e32 v213, s101, v213                             // 00000000579C: 69ABAA65
	v_mul_f32_e32 v128, s48, v128                              // 0000000057A0: 0B010030
	v_perm_b32 v68, v39, v38, s63                              // 0000000057A4: D1ED0044 00FE4D27
	v_perm_b32 v69, v39, v38, s64                              // 0000000057AC: D1ED0045 01024D27
	v_perm_b32 v70, v41, v40, s63                              // 0000000057B4: D1ED0046 00FE5129
	v_perm_b32 v71, v41, v40, s64                              // 0000000057BC: D1ED0047 01025129
	v_perm_b32 v72, v43, v42, s63                              // 0000000057C4: D1ED0048 00FE552B
	v_perm_b32 v73, v43, v42, s64                              // 0000000057CC: D1ED0049 0102552B
	v_perm_b32 v74, v51, v50, s63                              // 0000000057D4: D1ED004A 00FE6533
	v_perm_b32 v75, v51, v50, s64                              // 0000000057DC: D1ED004B 01026533
	v_perm_b32 v76, v53, v52, s63                              // 0000000057E4: D1ED004C 00FE6935
	v_perm_b32 v77, v53, v52, s64                              // 0000000057EC: D1ED004D 01026935
	v_perm_b32 v78, v55, v54, s63                              // 0000000057F4: D1ED004E 00FE6D37
	v_perm_b32 v79, v55, v54, s64                              // 0000000057FC: D1ED004F 01026D37
	v_mov_b32_dpp v131, v128 quad_perm:[3,3,3,3] row_mask:0xf bank_mask:0xf// 000000005804: 7F0602FA FF00FF80
	v_mov_b32_dpp v130, v128 quad_perm:[2,2,2,2] row_mask:0xf bank_mask:0xf// 00000000580C: 7F0402FA FF00AA80
	v_mov_b32_dpp v129, v128 quad_perm:[1,1,1,1] row_mask:0xf bank_mask:0xf// 000000005814: 7F0202FA FF005580
	v_mov_b32_dpp v128, v128 quad_perm:[0,0,0,0] row_mask:0xf bank_mask:0xf// 00000000581C: 7F0002FA FF000080
	s_waitcnt vmcnt(13)                                        // 000000005824: BF8C0F7D
	s_barrier                                                  // 000000005828: BF8A0000
	s_cmp_lt_i32 s46, 2                                        // 00000000582C: BF04822E
	s_cbranch_scc0 label_09FF                                  // 000000005830: BF8403F2
	s_nop 0                                                    // 000000005834: BF800000
	s_nop 0                                                    // 000000005838: BF800000

000000000000583c <label_060F>:
	s_waitcnt lgkmcnt(0)                                       // 00000000583C: BF8CC07F
	s_barrier                                                  // 000000005840: BF8A0000
	v_mfma_f32_16x16x16_bf16 v[56:59], a[72:73], a[0:1], 0     // 000000005844: D3E10038 1A020148
	ds_write_b32 v11, v50 offset:13056                         // 00000000584C: D81A3300 0000320B
	ds_write_b32 v11, v51 offset:14112                         // 000000005854: D81A3720 0000330B
	ds_write_b32 v11, v52 offset:15232                         // 00000000585C: D81A3B80 0000340B
	v_mfma_f32_16x16x16_bf16 v[56:59], a[74:75], a[2:3], v[56:59]// 000000005864: D3E10038 1CE2054A
	v_mul_f32_e32 v132, s47, v132                              // 00000000586C: 0B09082F
	v_mul_f32_e32 v133, s47, v133                              // 000000005870: 0B0B0A2F
	v_mul_f32_e32 v134, s47, v134                              // 000000005874: 0B0D0C2F
	v_mul_f32_e32 v135, s47, v135                              // 000000005878: 0B0F0E2F
	v_mfma_f32_16x16x16_bf16 v[56:59], a[76:77], a[4:5], v[56:59]// 00000000587C: D3E10038 1CE2094C
	ds_write_b32 v11, v53 offset:16288                         // 000000005884: D81A3FA0 0000350B
	ds_write_b32 v11, v54 offset:17408                         // 00000000588C: D81A4400 0000360B
	ds_write_b32 v11, v55 offset:18464                         // 000000005894: D81A4820 0000370B
	v_mfma_f32_16x16x16_bf16 v[56:59], a[78:79], a[6:7], v[56:59]// 00000000589C: D3E10038 1CE20D4E
	v_mul_f32_e32 v136, s47, v136                              // 0000000058A4: 0B11102F
	v_mul_f32_e32 v137, s47, v137                              // 0000000058A8: 0B13122F
	v_mul_f32_e32 v138, s47, v138                              // 0000000058AC: 0B15142F
	v_mul_f32_e32 v139, s47, v139                              // 0000000058B0: 0B17162F
	v_mfma_f32_16x16x16_bf16 v[56:59], a[80:81], a[8:9], v[56:59]// 0000000058B4: D3E10038 1CE21150
	ds_write_b64 v20, v[132:133] offset:28416                  // 0000000058BC: D89A6F00 00008414
	ds_write_b64 v20, v[134:135] offset:28928                  // 0000000058C4: D89A7100 00008614
	v_mfma_f32_16x16x16_bf16 v[56:59], a[82:83], a[10:11], v[56:59]// 0000000058CC: D3E10038 1CE21552
	v_mul_f32_e32 v140, s47, v140                              // 0000000058D4: 0B19182F
	v_mul_f32_e32 v141, s47, v141                              // 0000000058D8: 0B1B1A2F
	v_mul_f32_e32 v142, s47, v142                              // 0000000058DC: 0B1D1C2F
	v_mul_f32_e32 v143, s47, v143                              // 0000000058E0: 0B1F1E2F
	v_mfma_f32_16x16x16_bf16 v[56:59], a[84:85], a[12:13], v[56:59]// 0000000058E4: D3E10038 1CE21954
	ds_write_b64 v20, v[136:137] offset:29440                  // 0000000058EC: D89A7300 00008814
	ds_write_b64 v20, v[138:139] offset:29952                  // 0000000058F4: D89A7500 00008A14
	v_mfma_f32_16x16x16_bf16 v[56:59], a[86:87], a[14:15], v[56:59]// 0000000058FC: D3E10038 1CE21D56
	ds_write_b64 v20, v[140:141] offset:30464                  // 000000005904: D89A7700 00008C14
	ds_write_b64 v20, v[142:143] offset:30976                  // 00000000590C: D89A7900 00008E14
	v_mfma_f32_16x16x16_bf16 v[56:59], a[88:89], a[16:17], v[56:59]// 000000005914: D3E10038 1CE22158
	ds_read_b128 v[104:107], v12 offset:19584                  // 00000000591C: D9FE4C80 6800000C
	v_mfma_f32_16x16x16_bf16 v[56:59], a[90:91], a[18:19], v[56:59]// 000000005924: D3E10038 1CE2255A
	ds_read_b128 v[108:111], v12 offset:20096                  // 00000000592C: D9FE4E80 6C00000C
	v_mfma_f32_16x16x16_bf16 v[56:59], a[92:93], a[20:21], v[56:59]// 000000005934: D3E10038 1CE2295C
	ds_read_b128 v[112:115], v12 offset:21760                  // 00000000593C: D9FE5500 7000000C
	ds_read_b128 v[116:119], v12 offset:22272                  // 000000005944: D9FE5700 7400000C
	v_mfma_f32_16x16x16_bf16 v[56:59], a[94:95], a[22:23], v[56:59]// 00000000594C: D3E10038 1CE22D5E
	ds_read_b128 v[120:123], v12 offset:23936                  // 000000005954: D9FE5D80 7800000C
	ds_read_b128 v[124:127], v12 offset:24448                  // 00000000595C: D9FE5F80 7C00000C
	s_cmp_lt_i32 s81, 64                                       // 000000005964: BF04C051
	s_cbranch_scc0 label_066A                                  // 000000005968: BF84000F
	v_and_b32_e32 v28, 15, v0                                  // 00000000596C: 2638008F
	v_mul_i32_i24_e64 v29, s46, 16                             // 000000005970: D106001D 0001202E
	v_add_u32_e32 v28, v28, v29                                // 000000005978: 68383B1C
	v_cmp_lt_u32_e64 s[60:61], v28, s81                        // 00000000597C: D0C9003C 0000A31C
	s_nop 1                                                    // 000000005984: BF800001
	v_cndmask_b32_e64 v56, v159, v56, s[60:61]                 // 000000005988: D1000038 00F2719F
	v_cndmask_b32_e64 v57, v159, v57, s[60:61]                 // 000000005990: D1000039 00F2739F
	v_cndmask_b32_e64 v58, v159, v58, s[60:61]                 // 000000005998: D100003A 00F2759F
	v_cndmask_b32_e64 v59, v159, v59, s[60:61]                 // 0000000059A0: D100003B 00F2779F

00000000000059a8 <label_066A>:
	s_waitcnt lgkmcnt(6)                                       // 0000000059A8: BF8CC67F
	s_barrier                                                  // 0000000059AC: BF8A0000
	v_mfma_f32_16x16x16_bf16 v[64:67], v[80:81], a[48:49], 0   // 0000000059B0: D3E10040 12026150
	ds_read_b128 a[72:75], v12 offset:6528                     // 0000000059B8: DBFE1980 4800000C
	ds_read_b128 a[76:79], v12 offset:7040                     // 0000000059C0: DBFE1B80 4C00000C
	ds_write_b32 v11, v38                                      // 0000000059C8: D81A0000 0000260B
	ds_write_b32 v11, v39 offset:1056                          // 0000000059D0: D81A0420 0000270B
	v_mfma_f32_16x16x16_bf16 v[64:67], v[82:83], a[50:51], v[64:67]// 0000000059D8: D3E10040 15026552
	v_fma_f32 v56, v56, s57, -v128                             // 0000000059E0: D1CB0038 86007338
	v_fma_f32 v57, v57, s57, -v129                             // 0000000059E8: D1CB0039 86047339
	v_fma_f32 v58, v58, s57, -v130                             // 0000000059F0: D1CB003A 8608733A
	v_fma_f32 v59, v59, s57, -v131                             // 0000000059F8: D1CB003B 860C733B
	v_mfma_f32_16x16x16_bf16 v[64:67], v[84:85], a[52:53], v[64:67]// 000000005A00: D3E10040 15026954
	ds_read_b128 a[80:83], v12 offset:8704                     // 000000005A08: DBFE2200 5000000C
	ds_read_b128 a[84:87], v12 offset:9216                     // 000000005A10: DBFE2400 5400000C
	ds_write_b32 v11, v40 offset:2176                          // 000000005A18: D81A0880 0000280B
	v_mfma_f32_16x16x16_bf16 v[64:67], v[86:87], a[54:55], v[64:67]// 000000005A20: D3E10040 15026D56
	v_exp_f32_e32 v56, v56                                     // 000000005A28: 7E704138
	v_mfma_f32_16x16x16_bf16 v[64:67], v[88:89], a[56:57], v[64:67]// 000000005A2C: D3E10040 15027158
	ds_read_b128 a[88:91], v12 offset:10880                    // 000000005A34: DBFE2A80 5800000C
	ds_read_b128 a[92:95], v12 offset:11392                    // 000000005A3C: DBFE2C80 5C00000C
	ds_write_b32 v11, v41 offset:3232                          // 000000005A44: D81A0CA0 0000290B
	v_mfma_f32_16x16x16_bf16 v[64:67], v[90:91], a[58:59], v[64:67]// 000000005A4C: D3E10040 1502755A
	v_exp_f32_e32 v57, v57                                     // 000000005A54: 7E724139
	v_mfma_f32_16x16x16_bf16 v[64:67], v[92:93], a[60:61], v[64:67]// 000000005A58: D3E10040 1502795C
	ds_read_b64 v[144:145], v19 offset:28416                   // 000000005A60: D8EC6F00 90000013
	ds_read_b64 v[146:147], v19 offset:30464                   // 000000005A68: D8EC7700 92000013
	ds_read_b64 v[148:149], v19 offset:32512                   // 000000005A70: D8EC7F00 94000013
	ds_write_b32 v11, v42 offset:4352                          // 000000005A78: D81A1100 00002A0B
	v_mfma_f32_16x16x16_bf16 v[64:67], v[94:95], a[62:63], v[64:67]// 000000005A80: D3E10040 15027D5E
	v_exp_f32_e32 v58, v58                                     // 000000005A88: 7E74413A
	v_mfma_f32_16x16x16_bf16 v[64:67], v[96:97], a[64:65], v[64:67]// 000000005A8C: D3E10040 15028160
	ds_read_b64 v[150:151], v19 offset:34560                   // 000000005A94: D8EC8700 96000013
	ds_read_b64 v[152:153], v19 offset:36608                   // 000000005A9C: D8EC8F00 98000013
	ds_read_b64 v[154:155], v19 offset:38656                   // 000000005AA4: D8EC9700 9A000013
	ds_write_b32 v11, v43 offset:5408                          // 000000005AAC: D81A1520 00002B0B
	v_mfma_f32_16x16x16_bf16 v[64:67], v[98:99], a[66:67], v[64:67]// 000000005AB4: D3E10040 15028562
	v_exp_f32_e32 v59, v59                                     // 000000005ABC: 7E76413B
	v_mfma_f32_16x16x16_bf16 v[64:67], v[100:101], a[68:69], v[64:67]// 000000005AC0: D3E10040 15028964
	v_cmp_u_f32_e64 s[74:75], v56, v56                         // 000000005AC8: D048004A 00027138
	v_add3_u32 v208, v56, v211, 1                              // 000000005AD0: D1FF00D0 0207A738
	v_cndmask_b32_e64 v28, v208, v210, s[74:75]                // 000000005AD8: D100001C 012BA5D0
	v_cmp_u_f32_e64 s[74:75], v57, v57                         // 000000005AE0: D048004A 00027339
	v_add3_u32 v208, v57, v211, 1                              // 000000005AE8: D1FF00D0 0207A739
	v_cndmask_b32_e64 v29, v208, v210, s[74:75]                // 000000005AF0: D100001D 012BA5D0
	v_perm_b32 v156, v29, v28, s64                             // 000000005AF8: D1ED009C 0102391D
	v_mfma_f32_16x16x16_bf16 v[64:67], v[102:103], a[70:71], v[64:67]// 000000005B00: D3E10040 15028D66
	v_cmp_u_f32_e64 s[74:75], v58, v58                         // 000000005B08: D048004A 0002753A
	v_add3_u32 v208, v58, v211, 1                              // 000000005B10: D1FF00D0 0207A73A
	v_cndmask_b32_e64 v28, v208, v210, s[74:75]                // 000000005B18: D100001C 012BA5D0
	v_cmp_u_f32_e64 s[74:75], v59, v59                         // 000000005B20: D048004A 0002773B
	v_add3_u32 v208, v59, v211, 1                              // 000000005B28: D1FF00D0 0207A73B
	v_cndmask_b32_e64 v29, v208, v210, s[74:75]                // 000000005B30: D100001D 012BA5D0
	v_perm_b32 v157, v29, v28, s64                             // 000000005B38: D1ED009D 0102391D
	v_add_u32_e32 v7, s66, v7                                  // 000000005B40: 680E0E42
	v_add_u32_e32 v8, s66, v8                                  // 000000005B44: 68101042
	s_waitcnt lgkmcnt(0)                                       // 000000005B48: BF8CC07F
	s_barrier                                                  // 000000005B4C: BF8A0000
	v_mfma_f32_16x16x16_bf16 v[160:163], v[104:105], v[156:157], v[160:163]// 000000005B50: D3E100A0 06833968
	v_subrev_f32_dpp v64, v158, v64 quad_perm:[0,0,0,0] row_mask:0xf bank_mask:0xf// 000000005B58: 068080FA FF00009E
	v_subrev_f32_dpp v65, v158, v65 quad_perm:[1,1,1,1] row_mask:0xf bank_mask:0xf// 000000005B60: 068282FA FF00559E
	buffer_atomic_add_f32 v144, v7, s[32:35], 0 offen          // 000000005B68: E1341000 80089007
	v_mfma_f32_16x16x16_bf16 v[164:167], v[106:107], v[156:157], v[164:167]// 000000005B70: D3E100A4 0693396A
	v_subrev_f32_dpp v66, v158, v66 quad_perm:[2,2,2,2] row_mask:0xf bank_mask:0xf// 000000005B78: 068484FA FF00AA9E
	v_subrev_f32_dpp v67, v158, v67 quad_perm:[3,3,3,3] row_mask:0xf bank_mask:0xf// 000000005B80: 068686FA FF00FF9E
	buffer_atomic_add_f32 v145, v8, s[32:35], 0 offen          // 000000005B88: E1341000 80089108
	v_mfma_f32_16x16x16_bf16 v[168:171], v[108:109], v[156:157], v[168:171]// 000000005B90: D3E100A8 06A3396C
	v_mul_f32_e32 v64, v56, v64                                // 000000005B98: 0A808138
	v_mul_f32_e32 v65, v57, v65                                // 000000005B9C: 0A828339
	buffer_atomic_add_f32 v146, v7, s[32:35], 0 offen offset:128// 000000005BA0: E1341080 80089207
	v_mfma_f32_16x16x16_bf16 v[172:175], v[110:111], v[156:157], v[172:175]// 000000005BA8: D3E100AC 06B3396E
	v_mul_f32_e32 v66, v58, v66                                // 000000005BB0: 0A84853A
	v_mul_f32_e32 v67, v59, v67                                // 000000005BB4: 0A86873B
	buffer_atomic_add_f32 v147, v8, s[32:35], 0 offen offset:128// 000000005BB8: E1341080 80089308
	v_mfma_f32_16x16x16_bf16 v[176:179], v[112:113], v[156:157], v[176:179]// 000000005BC0: D3E100B0 06C33970
	v_cmp_u_f32_e64 s[74:75], v64, v64                         // 000000005BC8: D048004A 00028140
	v_add3_u32 v208, v64, v211, 1                              // 000000005BD0: D1FF00D0 0207A740
	v_cndmask_b32_e64 v28, v208, v210, s[74:75]                // 000000005BD8: D100001C 012BA5D0
	v_cmp_u_f32_e64 s[74:75], v65, v65                         // 000000005BE0: D048004A 00028341
	v_add3_u32 v208, v65, v211, 1                              // 000000005BE8: D1FF00D0 0207A741
	v_cndmask_b32_e64 v29, v208, v210, s[74:75]                // 000000005BF0: D100001D 012BA5D0
	v_perm_b32 v64, v29, v28, s64                              // 000000005BF8: D1ED0040 0102391D
	v_mfma_f32_16x16x16_bf16 v[180:183], v[114:115], v[156:157], v[180:183]// 000000005C00: D3E100B4 06D33972
	v_cmp_u_f32_e64 s[74:75], v66, v66                         // 000000005C08: D048004A 00028542
	v_add3_u32 v208, v66, v211, 1                              // 000000005C10: D1FF00D0 0207A742
	v_cndmask_b32_e64 v28, v208, v210, s[74:75]                // 000000005C18: D100001C 012BA5D0
	v_cmp_u_f32_e64 s[74:75], v67, v67                         // 000000005C20: D048004A 00028743
	v_add3_u32 v208, v67, v211, 1                              // 000000005C28: D1FF00D0 0207A743
	v_cndmask_b32_e64 v29, v208, v210, s[74:75]                // 000000005C30: D100001D 012BA5D0
	v_perm_b32 v65, v29, v28, s64                              // 000000005C38: D1ED0041 0102391D
	v_mfma_f32_16x16x16_bf16 v[184:187], v[116:117], v[156:157], v[184:187]// 000000005C40: D3E100B8 06E33974
	v_mov_b32_dpp v16, v64 quad_perm:[1,0,3,2] row_mask:0xf bank_mask:0xf// 000000005C48: 7E2002FA FF00B140
	v_perm_b32 v56, v16, v64, v15                              // 000000005C50: D1ED0038 043E8110
	buffer_atomic_add_f32 v148, v7, s[32:35], 0 offen offset:256// 000000005C58: E1341100 80089407
	v_mfma_f32_16x16x16_bf16 v[188:191], v[118:119], v[156:157], v[188:191]// 000000005C60: D3E100BC 06F33976
	v_mov_b32_dpp v16, v65 quad_perm:[1,0,3,2] row_mask:0xf bank_mask:0xf// 000000005C68: 7E2002FA FF00B141
	v_perm_b32 v57, v16, v65, v15                              // 000000005C70: D1ED0039 043E8310
	buffer_atomic_add_f32 v149, v8, s[32:35], 0 offen offset:256// 000000005C78: E1341100 80089508
	v_mfma_f32_16x16x16_bf16 v[192:195], v[120:121], v[156:157], v[192:195]// 000000005C80: D3E100C0 07033978
	ds_write_b32 v13, v68 offset:6528                          // 000000005C88: D81A1980 0000440D
	ds_write_b32 v13, v69 offset:7584                          // 000000005C90: D81A1DA0 0000450D
	v_mfma_f32_16x16x16_bf16 v[196:199], v[122:123], v[156:157], v[196:199]// 000000005C98: D3E100C4 0713397A
	ds_write_b32 v18, v56 offset:26112                         // 000000005CA0: D81A6600 00003812
	ds_write_b32 v18, v57 offset:26656                         // 000000005CA8: D81A6820 00003912
	v_mfma_f32_16x16x16_bf16 v[200:203], v[124:125], v[156:157], v[200:203]// 000000005CB0: D3E100C8 0723397C
	ds_write_b32 v13, v70 offset:8704                          // 000000005CB8: D81A2200 0000460D
	ds_write_b32 v13, v71 offset:9760                          // 000000005CC0: D81A2620 0000470D
	v_mfma_f32_16x16x16_bf16 v[204:207], v[126:127], v[156:157], v[204:207]// 000000005CC8: D3E100CC 0733397E
	ds_write_b32 v13, v72 offset:10880                         // 000000005CD0: D81A2A80 0000480D
	ds_write_b32 v13, v73 offset:11936                         // 000000005CD8: D81A2EA0 0000490D
	s_barrier                                                  // 000000005CE0: BF8A0000
	v_mfma_f32_16x16x16_bf16 a[96:99], a[72:73], v[64:65], a[96:99]// 000000005CE4: D3E18060 0D828148
	buffer_atomic_add_f32 v150, v7, s[32:35], 0 offen offset:384// 000000005CEC: E1341180 80089607
	buffer_atomic_add_f32 v151, v8, s[32:35], 0 offen offset:384// 000000005CF4: E1341180 80089708
	v_mfma_f32_16x16x16_bf16 a[100:103], a[74:75], v[64:65], a[100:103]// 000000005CFC: D3E18064 0D92814A
	ds_read_b32 v128, v21 offset:41216                         // 000000005D04: D86CA100 80000015
	ds_read_b32 v158, v21 offset:41472                         // 000000005D0C: D86CA200 9E000015
	v_mfma_f32_16x16x16_bf16 a[104:107], a[76:77], v[64:65], a[104:107]// 000000005D14: D3E18068 0DA2814C
	s_waitcnt lgkmcnt(6)                                       // 000000005D1C: BF8CC67F
	s_barrier                                                  // 000000005D20: BF8A0000
	v_mfma_f32_16x16x16_bf16 a[108:111], a[78:79], v[64:65], a[108:111]// 000000005D24: D3E1806C 0DB2814E
	ds_read_b128 v[56:59], v17 offset:26112                    // 000000005D2C: D9FE6600 38000011
	v_mfma_f32_16x16x16_bf16 a[112:115], a[80:81], v[64:65], a[112:115]// 000000005D34: D3E18070 0DC28150
	s_mov_b64 exec, s[88:89]                                   // 000000005D3C: BEFE0158
	buffer_atomic_add_f32 v152, v7, s[32:35], 0 offen offset:512// 000000005D40: E1341200 80089807
	s_mov_b64 exec, s[84:85]                                   // 000000005D48: BEFE0154
	v_mfma_f32_16x16x16_bf16 a[116:119], a[82:83], v[64:65], a[116:119]// 000000005D4C: D3E18074 0DD28152
	ds_read_b128 v[60:63], v17 offset:27264                    // 000000005D54: D9FE6A80 3C000011
	v_mfma_f32_16x16x16_bf16 a[120:123], a[84:85], v[64:65], a[120:123]// 000000005D5C: D3E18078 0DE28154
	s_mov_b64 exec, s[88:89]                                   // 000000005D64: BEFE0158
	buffer_atomic_add_f32 v153, v8, s[32:35], 0 offen offset:512// 000000005D68: E1341200 80089908
	s_mov_b64 exec, s[84:85]                                   // 000000005D70: BEFE0154
	v_mfma_f32_16x16x16_bf16 a[124:127], a[86:87], v[64:65], a[124:127]// 000000005D74: D3E1807C 0DF28156
	ds_write_b32 v13, v74 offset:19584                         // 000000005D7C: D81A4C80 00004A0D
	ds_write_b32 v13, v75 offset:20640                         // 000000005D84: D81A50A0 00004B0D
	v_mfma_f32_16x16x16_bf16 a[128:131], a[88:89], v[64:65], a[128:131]// 000000005D8C: D3E18080 0E028158
	s_mov_b64 exec, s[90:91]                                   // 000000005D94: BEFE015A
	buffer_atomic_add_f32 v154, v7, s[32:35], 0 offen offset:640// 000000005D98: E1341280 80089A07
	s_mov_b64 exec, s[84:85]                                   // 000000005DA0: BEFE0154
	v_mfma_f32_16x16x16_bf16 a[132:135], a[90:91], v[64:65], a[132:135]// 000000005DA4: D3E18084 0E12815A
	ds_write_b32 v13, v76 offset:21760                         // 000000005DAC: D81A5500 00004C0D
	ds_write_b32 v13, v77 offset:22816                         // 000000005DB4: D81A5920 00004D0D
	v_mfma_f32_16x16x16_bf16 a[136:139], a[92:93], v[64:65], a[136:139]// 000000005DBC: D3E18088 0E22815C
	s_mov_b64 exec, s[90:91]                                   // 000000005DC4: BEFE015A
	buffer_atomic_add_f32 v155, v8, s[32:35], 0 offen offset:640// 000000005DC8: E1341280 80089B08
	s_mov_b64 exec, s[84:85]                                   // 000000005DD0: BEFE0154
	v_mfma_f32_16x16x16_bf16 a[140:143], a[94:95], v[64:65], a[140:143]// 000000005DD4: D3E1808C 0E32815E
	ds_write_b32 v13, v78 offset:23936                         // 000000005DDC: D81A5D80 00004E0D
	ds_write_b32 v13, v79 offset:24992                         // 000000005DE4: D81A61A0 00004F0D
	s_waitcnt vmcnt(12) lgkmcnt(6)                             // 000000005DEC: BF8C067C
	s_barrier                                                  // 000000005DF0: BF8A0000
	v_mfma_f32_16x16x16_bf16 v[132:135], v[56:57], a[24:25], 0 // 000000005DF4: D3E10084 12023138
	v_mul_f32_e32 v128, s48, v128                              // 000000005DFC: 0B010030
	v_perm_b32 v68, v33, v32, s63                              // 000000005E00: D1ED0044 00FE4121
	v_perm_b32 v69, v33, v32, s64                              // 000000005E08: D1ED0045 01024121
	v_perm_b32 v70, v35, v34, s63                              // 000000005E10: D1ED0046 00FE4523
	v_mfma_f32_16x16x16_bf16 v[132:135], v[58:59], a[30:31], v[132:135]// 000000005E18: D3E10084 16123D3A
	ds_read_b128 a[72:75], v10                                 // 000000005E20: DBFE0000 4800000A
	ds_read_b128 a[76:79], v10 offset:512                      // 000000005E28: DBFE0200 4C00000A
	ds_read_b128 a[80:83], v10 offset:2176                     // 000000005E30: DBFE0880 5000000A
	buffer_load_dword v38, v1, s[8:11], 0 idxen                // 000000005E38: E0502000 80022601
	buffer_load_dword v39, v2, s[8:11], 0 idxen                // 000000005E40: E0502000 80022702
	v_mfma_f32_16x16x16_bf16 v[132:135], v[60:61], a[36:37], v[132:135]// 000000005E48: D3E10084 1612493C
	v_perm_b32 v71, v35, v34, s64                              // 000000005E50: D1ED0047 01024523
	v_perm_b32 v72, v37, v36, s63                              // 000000005E58: D1ED0048 00FE4925
	v_perm_b32 v73, v37, v36, s64                              // 000000005E60: D1ED0049 01024925
	v_mfma_f32_16x16x16_bf16 v[132:135], v[62:63], a[42:43], v[132:135]// 000000005E68: D3E10084 1612553E
	ds_read_b128 a[84:87], v10 offset:2688                     // 000000005E70: DBFE0A80 5400000A
	ds_read_b128 a[88:91], v10 offset:4352                     // 000000005E78: DBFE1100 5800000A
	ds_read_b128 a[92:95], v10 offset:4864                     // 000000005E80: DBFE1300 5C00000A
	buffer_load_dword v40, v1, s[8:11], 0 idxen offset:128     // 000000005E88: E0502080 80022801
	buffer_load_dword v41, v2, s[8:11], 0 idxen offset:128     // 000000005E90: E0502080 80022902
	v_mfma_f32_16x16x16_bf16 v[136:139], v[56:57], a[26:27], 0 // 000000005E98: D3E10088 12023538
	v_perm_b32 v74, v45, v44, s63                              // 000000005EA0: D1ED004A 00FE592D
	v_perm_b32 v75, v45, v44, s64                              // 000000005EA8: D1ED004B 0102592D
	v_perm_b32 v76, v47, v46, s63                              // 000000005EB0: D1ED004C 00FE5D2F
	v_mov_b32_dpp v131, v128 quad_perm:[3,3,3,3] row_mask:0xf bank_mask:0xf// 000000005EB8: 7F0602FA FF00FF80
	v_mov_b32_dpp v130, v128 quad_perm:[2,2,2,2] row_mask:0xf bank_mask:0xf// 000000005EC0: 7F0402FA FF00AA80
	v_mfma_f32_16x16x16_bf16 v[136:139], v[58:59], a[32:33], v[136:139]// 000000005EC8: D3E10088 1622413A
	ds_read_b128 v[80:83], v10 offset:13056                    // 000000005ED0: D9FE3300 5000000A
	ds_read_b128 v[84:87], v10 offset:13568                    // 000000005ED8: D9FE3500 5400000A
	ds_read_b128 v[88:91], v10 offset:15232                    // 000000005EE0: D9FE3B80 5800000A
	buffer_load_dword v50, v212, s[20:23], 0 idxen             // 000000005EE8: E0502000 800532D4
	buffer_load_dword v51, v213, s[20:23], 0 idxen             // 000000005EF0: E0502000 800533D5
	v_mfma_f32_16x16x16_bf16 v[136:139], v[60:61], a[38:39], v[136:139]// 000000005EF8: D3E10088 16224D3C
	v_perm_b32 v77, v47, v46, s64                              // 000000005F00: D1ED004D 01025D2F
	v_perm_b32 v78, v49, v48, s63                              // 000000005F08: D1ED004E 00FE6131
	v_perm_b32 v79, v49, v48, s64                              // 000000005F10: D1ED004F 01026131
	v_mov_b32_dpp v129, v128 quad_perm:[1,1,1,1] row_mask:0xf bank_mask:0xf// 000000005F18: 7F0202FA FF005580
	v_mov_b32_dpp v128, v128 quad_perm:[0,0,0,0] row_mask:0xf bank_mask:0xf// 000000005F20: 7F0002FA FF000080
	v_mfma_f32_16x16x16_bf16 v[136:139], v[62:63], a[44:45], v[136:139]// 000000005F28: D3E10088 1622593E
	ds_read_b128 v[92:95], v10 offset:15744                    // 000000005F30: D9FE3D80 5C00000A
	ds_read_b128 v[96:99], v10 offset:17408                    // 000000005F38: D9FE4400 6000000A
	ds_read_b128 v[100:103], v10 offset:17920                  // 000000005F40: D9FE4600 6400000A
	buffer_load_dword v52, v212, s[20:23], 0 idxen offset:128  // 000000005F48: E0502080 800534D4
	buffer_load_dword v53, v213, s[20:23], 0 idxen offset:128  // 000000005F50: E0502080 800535D5
	v_mfma_f32_16x16x16_bf16 v[140:143], v[56:57], a[28:29], 0 // 000000005F58: D3E1008C 12023938
	s_add_u32 s60, 64, s59                                     // 000000005F60: 803C3BC0
	s_cmp_lt_u32 s60, s58                                      // 000000005F64: BF0A3A3C
	s_cselect_b32 s68, s68, 0                                  // 000000005F68: 85448044
	s_cselect_b32 s101, s101, 0                                // 000000005F6C: 85658065
	s_cselect_b32 s69, s69, 0                                  // 000000005F70: 85458045
	v_mfma_f32_16x16x16_bf16 v[140:143], v[58:59], a[34:35], v[140:143]// 000000005F74: D3E1008C 1632453A
	buffer_load_dword v9, s[24:27], 0 idxen lds                // 000000005F7C: E0512000 80060009
	v_mov_b32_e32 v42, 0                                       // 000000005F84: 7E540280
	s_mov_b64 exec, s[78:79]                                   // 000000005F88: BEFE014E
	buffer_load_dword v42, v1, s[8:11], 0 idxen offset:256     // 000000005F8C: E0502100 80022A01
	s_mov_b64 exec, s[84:85]                                   // 000000005F94: BEFE0154
	v_mov_b32_e32 v43, 0                                       // 000000005F98: 7E560280
	s_mov_b64 exec, s[78:79]                                   // 000000005F9C: BEFE014E
	buffer_load_dword v43, v2, s[8:11], 0 idxen offset:256     // 000000005FA0: E0502100 80022B02
	s_mov_b64 exec, s[84:85]                                   // 000000005FA8: BEFE0154
	v_mfma_f32_16x16x16_bf16 v[140:143], v[60:61], a[40:41], v[140:143]// 000000005FAC: D3E1008C 1632513C
	v_mov_b32_e32 v54, 0                                       // 000000005FB4: 7E6C0280
	s_mov_b64 exec, s[78:79]                                   // 000000005FB8: BEFE014E
	buffer_load_dword v54, v212, s[20:23], 0 idxen offset:256  // 000000005FBC: E0502100 800536D4
	s_mov_b64 exec, s[84:85]                                   // 000000005FC4: BEFE0154
	v_mov_b32_e32 v55, 0                                       // 000000005FC8: 7E6E0280
	s_mov_b64 exec, s[78:79]                                   // 000000005FCC: BEFE014E
	buffer_load_dword v55, v213, s[20:23], 0 idxen offset:256  // 000000005FD0: E0502100 800537D5
	s_mov_b64 exec, s[84:85]                                   // 000000005FD8: BEFE0154
	v_add_u32_e32 v1, s68, v1                                  // 000000005FDC: 68020244
	v_add_u32_e32 v2, s68, v2                                  // 000000005FE0: 68040444
	v_add_u32_e32 v212, s101, v212                             // 000000005FE4: 69A9A865
	v_add_u32_e32 v213, s101, v213                             // 000000005FE8: 69ABAA65
	s_mov_b32 m0, s76                                          // 000000005FEC: BEFC004C
	v_add_u32_e32 v9, s69, v9                                  // 000000005FF0: 68121245
	v_mfma_f32_16x16x16_bf16 v[140:143], v[62:63], a[46:47], v[140:143]// 000000005FF4: D3E1008C 16325D3E
	s_cmp_ge_u32 s59, 16                                       // 000000005FFC: BF09903B
	s_cselect_b32 s66, s67, s66                                // 000000006000: 85424243
	s_addk_i32 s59, 0x10                                       // 000000006004: B73B0010
	s_nop 0                                                    // 000000006008: BF800000
	s_cmp_lt_i32 s59, s58                                      // 00000000600C: BF043A3B
	s_cbranch_scc0 label_09FC                                  // 000000006010: BF8401F7
	s_waitcnt lgkmcnt(0)                                       // 000000006014: BF8CC07F
	s_barrier                                                  // 000000006018: BF8A0000
	v_mfma_f32_16x16x16_bf16 v[56:59], a[72:73], a[0:1], 0     // 00000000601C: D3E10038 1A020148
	ds_write_b32 v11, v44 offset:13056                         // 000000006024: D81A3300 00002C0B
	ds_write_b32 v11, v45 offset:14112                         // 00000000602C: D81A3720 00002D0B
	ds_write_b32 v11, v46 offset:15232                         // 000000006034: D81A3B80 00002E0B
	v_mfma_f32_16x16x16_bf16 v[56:59], a[74:75], a[2:3], v[56:59]// 00000000603C: D3E10038 1CE2054A
	v_mul_f32_e32 v132, s47, v132                              // 000000006044: 0B09082F
	v_mul_f32_e32 v133, s47, v133                              // 000000006048: 0B0B0A2F
	v_mul_f32_e32 v134, s47, v134                              // 00000000604C: 0B0D0C2F
	v_mul_f32_e32 v135, s47, v135                              // 000000006050: 0B0F0E2F
	v_mfma_f32_16x16x16_bf16 v[56:59], a[76:77], a[4:5], v[56:59]// 000000006054: D3E10038 1CE2094C
	ds_write_b32 v11, v47 offset:16288                         // 00000000605C: D81A3FA0 00002F0B
	ds_write_b32 v11, v48 offset:17408                         // 000000006064: D81A4400 0000300B
	ds_write_b32 v11, v49 offset:18464                         // 00000000606C: D81A4820 0000310B
	v_mfma_f32_16x16x16_bf16 v[56:59], a[78:79], a[6:7], v[56:59]// 000000006074: D3E10038 1CE20D4E
	v_mul_f32_e32 v136, s47, v136                              // 00000000607C: 0B11102F
	v_mul_f32_e32 v137, s47, v137                              // 000000006080: 0B13122F
	v_mul_f32_e32 v138, s47, v138                              // 000000006084: 0B15142F
	v_mul_f32_e32 v139, s47, v139                              // 000000006088: 0B17162F
	v_mfma_f32_16x16x16_bf16 v[56:59], a[80:81], a[8:9], v[56:59]// 00000000608C: D3E10038 1CE21150
	ds_write_b64 v20, v[132:133] offset:28416                  // 000000006094: D89A6F00 00008414
	ds_write_b64 v20, v[134:135] offset:28928                  // 00000000609C: D89A7100 00008614
	v_mfma_f32_16x16x16_bf16 v[56:59], a[82:83], a[10:11], v[56:59]// 0000000060A4: D3E10038 1CE21552
	v_mul_f32_e32 v140, s47, v140                              // 0000000060AC: 0B19182F
	v_mul_f32_e32 v141, s47, v141                              // 0000000060B0: 0B1B1A2F
	v_mul_f32_e32 v142, s47, v142                              // 0000000060B4: 0B1D1C2F
	v_mul_f32_e32 v143, s47, v143                              // 0000000060B8: 0B1F1E2F
	v_mfma_f32_16x16x16_bf16 v[56:59], a[84:85], a[12:13], v[56:59]// 0000000060BC: D3E10038 1CE21954
	ds_write_b64 v20, v[136:137] offset:29440                  // 0000000060C4: D89A7300 00008814
	ds_write_b64 v20, v[138:139] offset:29952                  // 0000000060CC: D89A7500 00008A14
	v_mfma_f32_16x16x16_bf16 v[56:59], a[86:87], a[14:15], v[56:59]// 0000000060D4: D3E10038 1CE21D56
	ds_write_b64 v20, v[140:141] offset:30464                  // 0000000060DC: D89A7700 00008C14
	ds_write_b64 v20, v[142:143] offset:30976                  // 0000000060E4: D89A7900 00008E14
	v_mfma_f32_16x16x16_bf16 v[56:59], a[88:89], a[16:17], v[56:59]// 0000000060EC: D3E10038 1CE22158
	ds_read_b128 v[104:107], v12 offset:19584                  // 0000000060F4: D9FE4C80 6800000C
	v_mfma_f32_16x16x16_bf16 v[56:59], a[90:91], a[18:19], v[56:59]// 0000000060FC: D3E10038 1CE2255A
	ds_read_b128 v[108:111], v12 offset:20096                  // 000000006104: D9FE4E80 6C00000C
	v_mfma_f32_16x16x16_bf16 v[56:59], a[92:93], a[20:21], v[56:59]// 00000000610C: D3E10038 1CE2295C
	ds_read_b128 v[112:115], v12 offset:21760                  // 000000006114: D9FE5500 7000000C
	ds_read_b128 v[116:119], v12 offset:22272                  // 00000000611C: D9FE5700 7400000C
	v_mfma_f32_16x16x16_bf16 v[56:59], a[94:95], a[22:23], v[56:59]// 000000006124: D3E10038 1CE22D5E
	ds_read_b128 v[120:123], v12 offset:23936                  // 00000000612C: D9FE5D80 7800000C
	ds_read_b128 v[124:127], v12 offset:24448                  // 000000006134: D9FE5F80 7C00000C
	s_cmp_lt_i32 s81, 64                                       // 00000000613C: BF04C051
	s_cbranch_scc0 label_0860                                  // 000000006140: BF84000F
	v_and_b32_e32 v28, 15, v0                                  // 000000006144: 2638008F
	v_mul_i32_i24_e64 v29, s46, 16                             // 000000006148: D106001D 0001202E
	v_add_u32_e32 v28, v28, v29                                // 000000006150: 68383B1C
	v_cmp_lt_u32_e64 s[60:61], v28, s81                        // 000000006154: D0C9003C 0000A31C
	s_nop 1                                                    // 00000000615C: BF800001
	v_cndmask_b32_e64 v56, v159, v56, s[60:61]                 // 000000006160: D1000038 00F2719F
	v_cndmask_b32_e64 v57, v159, v57, s[60:61]                 // 000000006168: D1000039 00F2739F
	v_cndmask_b32_e64 v58, v159, v58, s[60:61]                 // 000000006170: D100003A 00F2759F
	v_cndmask_b32_e64 v59, v159, v59, s[60:61]                 // 000000006178: D100003B 00F2779F

0000000000006180 <label_0860>:
	s_waitcnt lgkmcnt(6)                                       // 000000006180: BF8CC67F
	s_barrier                                                  // 000000006184: BF8A0000
	v_mfma_f32_16x16x16_bf16 v[64:67], v[80:81], a[48:49], 0   // 000000006188: D3E10040 12026150
	ds_read_b128 a[72:75], v12 offset:6528                     // 000000006190: DBFE1980 4800000C
	ds_read_b128 a[76:79], v12 offset:7040                     // 000000006198: DBFE1B80 4C00000C
	ds_write_b32 v11, v32                                      // 0000000061A0: D81A0000 0000200B
	ds_write_b32 v11, v33 offset:1056                          // 0000000061A8: D81A0420 0000210B
	v_mfma_f32_16x16x16_bf16 v[64:67], v[82:83], a[50:51], v[64:67]// 0000000061B0: D3E10040 15026552
	v_fma_f32 v56, v56, s57, -v128                             // 0000000061B8: D1CB0038 86007338
	v_fma_f32 v57, v57, s57, -v129                             // 0000000061C0: D1CB0039 86047339
	v_fma_f32 v58, v58, s57, -v130                             // 0000000061C8: D1CB003A 8608733A
	v_fma_f32 v59, v59, s57, -v131                             // 0000000061D0: D1CB003B 860C733B
	v_mfma_f32_16x16x16_bf16 v[64:67], v[84:85], a[52:53], v[64:67]// 0000000061D8: D3E10040 15026954
	ds_read_b128 a[80:83], v12 offset:8704                     // 0000000061E0: DBFE2200 5000000C
	ds_read_b128 a[84:87], v12 offset:9216                     // 0000000061E8: DBFE2400 5400000C
	ds_write_b32 v11, v34 offset:2176                          // 0000000061F0: D81A0880 0000220B
	v_mfma_f32_16x16x16_bf16 v[64:67], v[86:87], a[54:55], v[64:67]// 0000000061F8: D3E10040 15026D56
	v_exp_f32_e32 v56, v56                                     // 000000006200: 7E704138
	v_mfma_f32_16x16x16_bf16 v[64:67], v[88:89], a[56:57], v[64:67]// 000000006204: D3E10040 15027158
	ds_read_b128 a[88:91], v12 offset:10880                    // 00000000620C: DBFE2A80 5800000C
	ds_read_b128 a[92:95], v12 offset:11392                    // 000000006214: DBFE2C80 5C00000C
	ds_write_b32 v11, v35 offset:3232                          // 00000000621C: D81A0CA0 0000230B
	v_mfma_f32_16x16x16_bf16 v[64:67], v[90:91], a[58:59], v[64:67]// 000000006224: D3E10040 1502755A
	v_exp_f32_e32 v57, v57                                     // 00000000622C: 7E724139
	v_mfma_f32_16x16x16_bf16 v[64:67], v[92:93], a[60:61], v[64:67]// 000000006230: D3E10040 1502795C
	ds_read_b64 v[144:145], v19 offset:28416                   // 000000006238: D8EC6F00 90000013
	ds_read_b64 v[146:147], v19 offset:30464                   // 000000006240: D8EC7700 92000013
	ds_read_b64 v[148:149], v19 offset:32512                   // 000000006248: D8EC7F00 94000013
	ds_write_b32 v11, v36 offset:4352                          // 000000006250: D81A1100 0000240B
	v_mfma_f32_16x16x16_bf16 v[64:67], v[94:95], a[62:63], v[64:67]// 000000006258: D3E10040 15027D5E
	v_exp_f32_e32 v58, v58                                     // 000000006260: 7E74413A
	v_mfma_f32_16x16x16_bf16 v[64:67], v[96:97], a[64:65], v[64:67]// 000000006264: D3E10040 15028160
	ds_read_b64 v[150:151], v19 offset:34560                   // 00000000626C: D8EC8700 96000013
	ds_read_b64 v[152:153], v19 offset:36608                   // 000000006274: D8EC8F00 98000013
	ds_read_b64 v[154:155], v19 offset:38656                   // 00000000627C: D8EC9700 9A000013
	ds_write_b32 v11, v37 offset:5408                          // 000000006284: D81A1520 0000250B
	v_mfma_f32_16x16x16_bf16 v[64:67], v[98:99], a[66:67], v[64:67]// 00000000628C: D3E10040 15028562
	v_exp_f32_e32 v59, v59                                     // 000000006294: 7E76413B
	v_mfma_f32_16x16x16_bf16 v[64:67], v[100:101], a[68:69], v[64:67]// 000000006298: D3E10040 15028964
	v_cmp_u_f32_e64 s[74:75], v56, v56                         // 0000000062A0: D048004A 00027138
	v_add3_u32 v208, v56, v211, 1                              // 0000000062A8: D1FF00D0 0207A738
	v_cndmask_b32_e64 v28, v208, v210, s[74:75]                // 0000000062B0: D100001C 012BA5D0
	v_cmp_u_f32_e64 s[74:75], v57, v57                         // 0000000062B8: D048004A 00027339
	v_add3_u32 v208, v57, v211, 1                              // 0000000062C0: D1FF00D0 0207A739
	v_cndmask_b32_e64 v29, v208, v210, s[74:75]                // 0000000062C8: D100001D 012BA5D0
	v_perm_b32 v156, v29, v28, s64                             // 0000000062D0: D1ED009C 0102391D
	v_mfma_f32_16x16x16_bf16 v[64:67], v[102:103], a[70:71], v[64:67]// 0000000062D8: D3E10040 15028D66
	v_cmp_u_f32_e64 s[74:75], v58, v58                         // 0000000062E0: D048004A 0002753A
	v_add3_u32 v208, v58, v211, 1                              // 0000000062E8: D1FF00D0 0207A73A
	v_cndmask_b32_e64 v28, v208, v210, s[74:75]                // 0000000062F0: D100001C 012BA5D0
	v_cmp_u_f32_e64 s[74:75], v59, v59                         // 0000000062F8: D048004A 0002773B
	v_add3_u32 v208, v59, v211, 1                              // 000000006300: D1FF00D0 0207A73B
	v_cndmask_b32_e64 v29, v208, v210, s[74:75]                // 000000006308: D100001D 012BA5D0
	v_perm_b32 v157, v29, v28, s64                             // 000000006310: D1ED009D 0102391D
	v_add_u32_e32 v7, s66, v7                                  // 000000006318: 680E0E42
	v_add_u32_e32 v8, s66, v8                                  // 00000000631C: 68101042
	s_waitcnt lgkmcnt(0)                                       // 000000006320: BF8CC07F
	s_barrier                                                  // 000000006324: BF8A0000
	v_mfma_f32_16x16x16_bf16 v[160:163], v[104:105], v[156:157], v[160:163]// 000000006328: D3E100A0 06833968
	v_subrev_f32_dpp v64, v158, v64 quad_perm:[0,0,0,0] row_mask:0xf bank_mask:0xf// 000000006330: 068080FA FF00009E
	v_subrev_f32_dpp v65, v158, v65 quad_perm:[1,1,1,1] row_mask:0xf bank_mask:0xf// 000000006338: 068282FA FF00559E
	buffer_atomic_add_f32 v144, v7, s[32:35], 0 offen          // 000000006340: E1341000 80089007
	v_mfma_f32_16x16x16_bf16 v[164:167], v[106:107], v[156:157], v[164:167]// 000000006348: D3E100A4 0693396A
	v_subrev_f32_dpp v66, v158, v66 quad_perm:[2,2,2,2] row_mask:0xf bank_mask:0xf// 000000006350: 068484FA FF00AA9E
	v_subrev_f32_dpp v67, v158, v67 quad_perm:[3,3,3,3] row_mask:0xf bank_mask:0xf// 000000006358: 068686FA FF00FF9E
	buffer_atomic_add_f32 v145, v8, s[32:35], 0 offen          // 000000006360: E1341000 80089108
	v_mfma_f32_16x16x16_bf16 v[168:171], v[108:109], v[156:157], v[168:171]// 000000006368: D3E100A8 06A3396C
	v_mul_f32_e32 v64, v56, v64                                // 000000006370: 0A808138
	v_mul_f32_e32 v65, v57, v65                                // 000000006374: 0A828339
	buffer_atomic_add_f32 v146, v7, s[32:35], 0 offen offset:128// 000000006378: E1341080 80089207
	v_mfma_f32_16x16x16_bf16 v[172:175], v[110:111], v[156:157], v[172:175]// 000000006380: D3E100AC 06B3396E
	v_mul_f32_e32 v66, v58, v66                                // 000000006388: 0A84853A
	v_mul_f32_e32 v67, v59, v67                                // 00000000638C: 0A86873B
	buffer_atomic_add_f32 v147, v8, s[32:35], 0 offen offset:128// 000000006390: E1341080 80089308
	v_mfma_f32_16x16x16_bf16 v[176:179], v[112:113], v[156:157], v[176:179]// 000000006398: D3E100B0 06C33970
	v_cmp_u_f32_e64 s[74:75], v64, v64                         // 0000000063A0: D048004A 00028140
	v_add3_u32 v208, v64, v211, 1                              // 0000000063A8: D1FF00D0 0207A740
	v_cndmask_b32_e64 v28, v208, v210, s[74:75]                // 0000000063B0: D100001C 012BA5D0
	v_cmp_u_f32_e64 s[74:75], v65, v65                         // 0000000063B8: D048004A 00028341
	v_add3_u32 v208, v65, v211, 1                              // 0000000063C0: D1FF00D0 0207A741
	v_cndmask_b32_e64 v29, v208, v210, s[74:75]                // 0000000063C8: D100001D 012BA5D0
	v_perm_b32 v64, v29, v28, s64                              // 0000000063D0: D1ED0040 0102391D
	v_mfma_f32_16x16x16_bf16 v[180:183], v[114:115], v[156:157], v[180:183]// 0000000063D8: D3E100B4 06D33972
	v_cmp_u_f32_e64 s[74:75], v66, v66                         // 0000000063E0: D048004A 00028542
	v_add3_u32 v208, v66, v211, 1                              // 0000000063E8: D1FF00D0 0207A742
	v_cndmask_b32_e64 v28, v208, v210, s[74:75]                // 0000000063F0: D100001C 012BA5D0
	v_cmp_u_f32_e64 s[74:75], v67, v67                         // 0000000063F8: D048004A 00028743
	v_add3_u32 v208, v67, v211, 1                              // 000000006400: D1FF00D0 0207A743
	v_cndmask_b32_e64 v29, v208, v210, s[74:75]                // 000000006408: D100001D 012BA5D0
	v_perm_b32 v65, v29, v28, s64                              // 000000006410: D1ED0041 0102391D
	v_mfma_f32_16x16x16_bf16 v[184:187], v[116:117], v[156:157], v[184:187]// 000000006418: D3E100B8 06E33974
	v_mov_b32_dpp v16, v64 quad_perm:[1,0,3,2] row_mask:0xf bank_mask:0xf// 000000006420: 7E2002FA FF00B140
	v_perm_b32 v56, v16, v64, v15                              // 000000006428: D1ED0038 043E8110
	buffer_atomic_add_f32 v148, v7, s[32:35], 0 offen offset:256// 000000006430: E1341100 80089407
	v_mfma_f32_16x16x16_bf16 v[188:191], v[118:119], v[156:157], v[188:191]// 000000006438: D3E100BC 06F33976
	v_mov_b32_dpp v16, v65 quad_perm:[1,0,3,2] row_mask:0xf bank_mask:0xf// 000000006440: 7E2002FA FF00B141
	v_perm_b32 v57, v16, v65, v15                              // 000000006448: D1ED0039 043E8310
	buffer_atomic_add_f32 v149, v8, s[32:35], 0 offen offset:256// 000000006450: E1341100 80089508
	v_mfma_f32_16x16x16_bf16 v[192:195], v[120:121], v[156:157], v[192:195]// 000000006458: D3E100C0 07033978
	ds_write_b32 v13, v68 offset:6528                          // 000000006460: D81A1980 0000440D
	ds_write_b32 v13, v69 offset:7584                          // 000000006468: D81A1DA0 0000450D
	v_mfma_f32_16x16x16_bf16 v[196:199], v[122:123], v[156:157], v[196:199]// 000000006470: D3E100C4 0713397A
	ds_write_b32 v18, v56 offset:26112                         // 000000006478: D81A6600 00003812
	ds_write_b32 v18, v57 offset:26656                         // 000000006480: D81A6820 00003912
	v_mfma_f32_16x16x16_bf16 v[200:203], v[124:125], v[156:157], v[200:203]// 000000006488: D3E100C8 0723397C
	ds_write_b32 v13, v70 offset:8704                          // 000000006490: D81A2200 0000460D
	ds_write_b32 v13, v71 offset:9760                          // 000000006498: D81A2620 0000470D
	v_mfma_f32_16x16x16_bf16 v[204:207], v[126:127], v[156:157], v[204:207]// 0000000064A0: D3E100CC 0733397E
	ds_write_b32 v13, v72 offset:10880                         // 0000000064A8: D81A2A80 0000480D
	ds_write_b32 v13, v73 offset:11936                         // 0000000064B0: D81A2EA0 0000490D
	s_barrier                                                  // 0000000064B8: BF8A0000
	v_mfma_f32_16x16x16_bf16 a[96:99], a[72:73], v[64:65], a[96:99]// 0000000064BC: D3E18060 0D828148
	buffer_atomic_add_f32 v150, v7, s[32:35], 0 offen offset:384// 0000000064C4: E1341180 80089607
	buffer_atomic_add_f32 v151, v8, s[32:35], 0 offen offset:384// 0000000064CC: E1341180 80089708
	v_mfma_f32_16x16x16_bf16 a[100:103], a[74:75], v[64:65], a[100:103]// 0000000064D4: D3E18064 0D92814A
	ds_read_b32 v128, v21 offset:40704                         // 0000000064DC: D86C9F00 80000015
	ds_read_b32 v158, v21 offset:40960                         // 0000000064E4: D86CA000 9E000015
	v_mfma_f32_16x16x16_bf16 a[104:107], a[76:77], v[64:65], a[104:107]// 0000000064EC: D3E18068 0DA2814C
	s_waitcnt lgkmcnt(6)                                       // 0000000064F4: BF8CC67F
	s_barrier                                                  // 0000000064F8: BF8A0000
	v_mfma_f32_16x16x16_bf16 a[108:111], a[78:79], v[64:65], a[108:111]// 0000000064FC: D3E1806C 0DB2814E
	ds_read_b128 v[56:59], v17 offset:26112                    // 000000006504: D9FE6600 38000011
	v_mfma_f32_16x16x16_bf16 a[112:115], a[80:81], v[64:65], a[112:115]// 00000000650C: D3E18070 0DC28150
	s_mov_b64 exec, s[88:89]                                   // 000000006514: BEFE0158
	buffer_atomic_add_f32 v152, v7, s[32:35], 0 offen offset:512// 000000006518: E1341200 80089807
	s_mov_b64 exec, s[84:85]                                   // 000000006520: BEFE0154
	v_mfma_f32_16x16x16_bf16 a[116:119], a[82:83], v[64:65], a[116:119]// 000000006524: D3E18074 0DD28152
	ds_read_b128 v[60:63], v17 offset:27264                    // 00000000652C: D9FE6A80 3C000011
	v_mfma_f32_16x16x16_bf16 a[120:123], a[84:85], v[64:65], a[120:123]// 000000006534: D3E18078 0DE28154
	s_mov_b64 exec, s[88:89]                                   // 00000000653C: BEFE0158
	buffer_atomic_add_f32 v153, v8, s[32:35], 0 offen offset:512// 000000006540: E1341200 80089908
	s_mov_b64 exec, s[84:85]                                   // 000000006548: BEFE0154
	v_mfma_f32_16x16x16_bf16 a[124:127], a[86:87], v[64:65], a[124:127]// 00000000654C: D3E1807C 0DF28156
	ds_write_b32 v13, v74 offset:19584                         // 000000006554: D81A4C80 00004A0D
	ds_write_b32 v13, v75 offset:20640                         // 00000000655C: D81A50A0 00004B0D
	v_mfma_f32_16x16x16_bf16 a[128:131], a[88:89], v[64:65], a[128:131]// 000000006564: D3E18080 0E028158
	s_mov_b64 exec, s[90:91]                                   // 00000000656C: BEFE015A
	buffer_atomic_add_f32 v154, v7, s[32:35], 0 offen offset:640// 000000006570: E1341280 80089A07
	s_mov_b64 exec, s[84:85]                                   // 000000006578: BEFE0154
	v_mfma_f32_16x16x16_bf16 a[132:135], a[90:91], v[64:65], a[132:135]// 00000000657C: D3E18084 0E12815A
	ds_write_b32 v13, v76 offset:21760                         // 000000006584: D81A5500 00004C0D
	ds_write_b32 v13, v77 offset:22816                         // 00000000658C: D81A5920 00004D0D
	v_mfma_f32_16x16x16_bf16 a[136:139], a[92:93], v[64:65], a[136:139]// 000000006594: D3E18088 0E22815C
	s_mov_b64 exec, s[90:91]                                   // 00000000659C: BEFE015A
	buffer_atomic_add_f32 v155, v8, s[32:35], 0 offen offset:640// 0000000065A0: E1341280 80089B08
	s_mov_b64 exec, s[84:85]                                   // 0000000065A8: BEFE0154
	v_mfma_f32_16x16x16_bf16 a[140:143], a[94:95], v[64:65], a[140:143]// 0000000065AC: D3E1808C 0E32815E
	ds_write_b32 v13, v78 offset:23936                         // 0000000065B4: D81A5D80 00004E0D
	ds_write_b32 v13, v79 offset:24992                         // 0000000065BC: D81A61A0 00004F0D
	s_waitcnt vmcnt(12) lgkmcnt(6)                             // 0000000065C4: BF8C067C
	s_barrier                                                  // 0000000065C8: BF8A0000
	v_mfma_f32_16x16x16_bf16 v[132:135], v[56:57], a[24:25], 0 // 0000000065CC: D3E10084 12023138
	v_mul_f32_e32 v128, s48, v128                              // 0000000065D4: 0B010030
	v_perm_b32 v68, v39, v38, s63                              // 0000000065D8: D1ED0044 00FE4D27
	v_perm_b32 v69, v39, v38, s64                              // 0000000065E0: D1ED0045 01024D27
	v_perm_b32 v70, v41, v40, s63                              // 0000000065E8: D1ED0046 00FE5129
	v_mfma_f32_16x16x16_bf16 v[132:135], v[58:59], a[30:31], v[132:135]// 0000000065F0: D3E10084 16123D3A
	ds_read_b128 a[72:75], v10                                 // 0000000065F8: DBFE0000 4800000A
	ds_read_b128 a[76:79], v10 offset:512                      // 000000006600: DBFE0200 4C00000A
	ds_read_b128 a[80:83], v10 offset:2176                     // 000000006608: DBFE0880 5000000A
	buffer_load_dword v32, v1, s[8:11], 0 idxen                // 000000006610: E0502000 80022001
	buffer_load_dword v33, v2, s[8:11], 0 idxen                // 000000006618: E0502000 80022102
	v_mfma_f32_16x16x16_bf16 v[132:135], v[60:61], a[36:37], v[132:135]// 000000006620: D3E10084 1612493C
	v_perm_b32 v71, v41, v40, s64                              // 000000006628: D1ED0047 01025129
	v_perm_b32 v72, v43, v42, s63                              // 000000006630: D1ED0048 00FE552B
	v_perm_b32 v73, v43, v42, s64                              // 000000006638: D1ED0049 0102552B
	v_mfma_f32_16x16x16_bf16 v[132:135], v[62:63], a[42:43], v[132:135]// 000000006640: D3E10084 1612553E
	ds_read_b128 a[84:87], v10 offset:2688                     // 000000006648: DBFE0A80 5400000A
	ds_read_b128 a[88:91], v10 offset:4352                     // 000000006650: DBFE1100 5800000A
	ds_read_b128 a[92:95], v10 offset:4864                     // 000000006658: DBFE1300 5C00000A
	buffer_load_dword v34, v1, s[8:11], 0 idxen offset:128     // 000000006660: E0502080 80022201
	buffer_load_dword v35, v2, s[8:11], 0 idxen offset:128     // 000000006668: E0502080 80022302
	v_mfma_f32_16x16x16_bf16 v[136:139], v[56:57], a[26:27], 0 // 000000006670: D3E10088 12023538
	v_perm_b32 v74, v51, v50, s63                              // 000000006678: D1ED004A 00FE6533
	v_perm_b32 v75, v51, v50, s64                              // 000000006680: D1ED004B 01026533
	v_perm_b32 v76, v53, v52, s63                              // 000000006688: D1ED004C 00FE6935
	v_mov_b32_dpp v131, v128 quad_perm:[3,3,3,3] row_mask:0xf bank_mask:0xf// 000000006690: 7F0602FA FF00FF80
	v_mov_b32_dpp v130, v128 quad_perm:[2,2,2,2] row_mask:0xf bank_mask:0xf// 000000006698: 7F0402FA FF00AA80
	v_mfma_f32_16x16x16_bf16 v[136:139], v[58:59], a[32:33], v[136:139]// 0000000066A0: D3E10088 1622413A
	ds_read_b128 v[80:83], v10 offset:13056                    // 0000000066A8: D9FE3300 5000000A
	ds_read_b128 v[84:87], v10 offset:13568                    // 0000000066B0: D9FE3500 5400000A
	ds_read_b128 v[88:91], v10 offset:15232                    // 0000000066B8: D9FE3B80 5800000A
	buffer_load_dword v44, v212, s[20:23], 0 idxen             // 0000000066C0: E0502000 80052CD4
	buffer_load_dword v45, v213, s[20:23], 0 idxen             // 0000000066C8: E0502000 80052DD5
	v_mfma_f32_16x16x16_bf16 v[136:139], v[60:61], a[38:39], v[136:139]// 0000000066D0: D3E10088 16224D3C
	v_perm_b32 v77, v53, v52, s64                              // 0000000066D8: D1ED004D 01026935
	v_perm_b32 v78, v55, v54, s63                              // 0000000066E0: D1ED004E 00FE6D37
	v_perm_b32 v79, v55, v54, s64                              // 0000000066E8: D1ED004F 01026D37
	v_mov_b32_dpp v129, v128 quad_perm:[1,1,1,1] row_mask:0xf bank_mask:0xf// 0000000066F0: 7F0202FA FF005580
	v_mov_b32_dpp v128, v128 quad_perm:[0,0,0,0] row_mask:0xf bank_mask:0xf// 0000000066F8: 7F0002FA FF000080
	v_mfma_f32_16x16x16_bf16 v[136:139], v[62:63], a[44:45], v[136:139]// 000000006700: D3E10088 1622593E
	ds_read_b128 v[92:95], v10 offset:15744                    // 000000006708: D9FE3D80 5C00000A
	ds_read_b128 v[96:99], v10 offset:17408                    // 000000006710: D9FE4400 6000000A
	ds_read_b128 v[100:103], v10 offset:17920                  // 000000006718: D9FE4600 6400000A
	buffer_load_dword v46, v212, s[20:23], 0 idxen offset:128  // 000000006720: E0502080 80052ED4
	buffer_load_dword v47, v213, s[20:23], 0 idxen offset:128  // 000000006728: E0502080 80052FD5
	v_mfma_f32_16x16x16_bf16 v[140:143], v[56:57], a[28:29], 0 // 000000006730: D3E1008C 12023938
	s_add_u32 s60, 64, s59                                     // 000000006738: 803C3BC0
	s_cmp_lt_u32 s60, s58                                      // 00000000673C: BF0A3A3C
	s_cselect_b32 s68, s68, 0                                  // 000000006740: 85448044
	s_cselect_b32 s101, s101, 0                                // 000000006744: 85658065
	s_cselect_b32 s69, s69, 0                                  // 000000006748: 85458045
	v_mfma_f32_16x16x16_bf16 v[140:143], v[58:59], a[34:35], v[140:143]// 00000000674C: D3E1008C 1632453A
	buffer_load_dword v9, s[24:27], 0 idxen lds                // 000000006754: E0512000 80060009
	v_mov_b32_e32 v36, 0                                       // 00000000675C: 7E480280
	s_mov_b64 exec, s[78:79]                                   // 000000006760: BEFE014E
	buffer_load_dword v36, v1, s[8:11], 0 idxen offset:256     // 000000006764: E0502100 80022401
	s_mov_b64 exec, s[84:85]                                   // 00000000676C: BEFE0154
	v_mov_b32_e32 v37, 0                                       // 000000006770: 7E4A0280
	s_mov_b64 exec, s[78:79]                                   // 000000006774: BEFE014E
	buffer_load_dword v37, v2, s[8:11], 0 idxen offset:256     // 000000006778: E0502100 80022502
	s_mov_b64 exec, s[84:85]                                   // 000000006780: BEFE0154
	v_mfma_f32_16x16x16_bf16 v[140:143], v[60:61], a[40:41], v[140:143]// 000000006784: D3E1008C 1632513C
	v_mov_b32_e32 v48, 0                                       // 00000000678C: 7E600280
	s_mov_b64 exec, s[78:79]                                   // 000000006790: BEFE014E
	buffer_load_dword v48, v212, s[20:23], 0 idxen offset:256  // 000000006794: E0502100 800530D4
	s_mov_b64 exec, s[84:85]                                   // 00000000679C: BEFE0154
	v_mov_b32_e32 v49, 0                                       // 0000000067A0: 7E620280
	s_mov_b64 exec, s[78:79]                                   // 0000000067A4: BEFE014E
	buffer_load_dword v49, v213, s[20:23], 0 idxen offset:256  // 0000000067A8: E0502100 800531D5
	s_mov_b64 exec, s[84:85]                                   // 0000000067B0: BEFE0154
	v_add_u32_e32 v1, s68, v1                                  // 0000000067B4: 68020244
	v_add_u32_e32 v2, s68, v2                                  // 0000000067B8: 68040444
	v_add_u32_e32 v212, s101, v212                             // 0000000067BC: 69A9A865
	v_add_u32_e32 v213, s101, v213                             // 0000000067C0: 69ABAA65
	s_mov_b32 m0, s77                                          // 0000000067C4: BEFC004D
	v_add_u32_e32 v9, s69, v9                                  // 0000000067C8: 68121245
	v_mfma_f32_16x16x16_bf16 v[140:143], v[62:63], a[46:47], v[140:143]// 0000000067CC: D3E1008C 16325D3E
	s_cmp_ge_u32 s59, 16                                       // 0000000067D4: BF09903B
	s_cselect_b32 s66, s67, s66                                // 0000000067D8: 85424243
	s_addk_i32 s59, 0x10                                       // 0000000067DC: B73B0010
	s_nop 0                                                    // 0000000067E0: BF800000
	s_cmp_lt_i32 s59, s58                                      // 0000000067E4: BF043A3B
	s_cbranch_scc0 label_09FC                                  // 0000000067E8: BF840001
	s_branch label_060F                                        // 0000000067EC: BF82FC13

00000000000067f0 <label_09FC>:
	s_nop 0                                                    // 0000000067F0: BF800000
	s_nop 0                                                    // 0000000067F4: BF800000
	s_branch label_0DEC                                        // 0000000067F8: BF8203ED

00000000000067fc <label_09FF>:
	s_waitcnt lgkmcnt(0)                                       // 0000000067FC: BF8CC07F
	s_barrier                                                  // 000000006800: BF8A0000
	v_mfma_f32_16x16x16_bf16 v[56:59], a[72:73], a[0:1], 0     // 000000006804: D3E10038 1A020148
	v_mul_f32_e32 v132, s47, v132                              // 00000000680C: 0B09082F
	v_mul_f32_e32 v133, s47, v133                              // 000000006810: 0B0B0A2F
	v_mul_f32_e32 v134, s47, v134                              // 000000006814: 0B0D0C2F
	v_mul_f32_e32 v135, s47, v135                              // 000000006818: 0B0F0E2F
	v_mfma_f32_16x16x16_bf16 v[56:59], a[74:75], a[2:3], v[56:59]// 00000000681C: D3E10038 1CE2054A
	ds_write_b32 v11, v50 offset:13056                         // 000000006824: D81A3300 0000320B
	ds_write_b32 v11, v51 offset:14112                         // 00000000682C: D81A3720 0000330B
	ds_write_b32 v11, v52 offset:15232                         // 000000006834: D81A3B80 0000340B
	v_mfma_f32_16x16x16_bf16 v[56:59], a[76:77], a[4:5], v[56:59]// 00000000683C: D3E10038 1CE2094C
	v_mul_f32_e32 v136, s47, v136                              // 000000006844: 0B11102F
	v_mul_f32_e32 v137, s47, v137                              // 000000006848: 0B13122F
	v_mul_f32_e32 v138, s47, v138                              // 00000000684C: 0B15142F
	v_mul_f32_e32 v139, s47, v139                              // 000000006850: 0B17162F
	v_mfma_f32_16x16x16_bf16 v[56:59], a[78:79], a[6:7], v[56:59]// 000000006854: D3E10038 1CE20D4E
	ds_write_b32 v11, v53 offset:16288                         // 00000000685C: D81A3FA0 0000350B
	ds_write_b32 v11, v54 offset:17408                         // 000000006864: D81A4400 0000360B
	ds_write_b32 v11, v55 offset:18464                         // 00000000686C: D81A4820 0000370B
	v_mfma_f32_16x16x16_bf16 v[56:59], a[80:81], a[8:9], v[56:59]// 000000006874: D3E10038 1CE21150
	v_mul_f32_e32 v140, s47, v140                              // 00000000687C: 0B19182F
	v_mul_f32_e32 v141, s47, v141                              // 000000006880: 0B1B1A2F
	v_mul_f32_e32 v142, s47, v142                              // 000000006884: 0B1D1C2F
	v_mul_f32_e32 v143, s47, v143                              // 000000006888: 0B1F1E2F
	v_mfma_f32_16x16x16_bf16 v[56:59], a[82:83], a[10:11], v[56:59]// 00000000688C: D3E10038 1CE21552
	ds_write_b64 v20, v[132:133] offset:28416                  // 000000006894: D89A6F00 00008414
	ds_write_b64 v20, v[134:135] offset:28928                  // 00000000689C: D89A7100 00008614
	v_mfma_f32_16x16x16_bf16 v[56:59], a[84:85], a[12:13], v[56:59]// 0000000068A4: D3E10038 1CE21954
	ds_write_b64 v20, v[136:137] offset:29440                  // 0000000068AC: D89A7300 00008814
	ds_write_b64 v20, v[138:139] offset:29952                  // 0000000068B4: D89A7500 00008A14
	v_mfma_f32_16x16x16_bf16 v[56:59], a[86:87], a[14:15], v[56:59]// 0000000068BC: D3E10038 1CE21D56
	ds_write_b64 v20, v[140:141] offset:30464                  // 0000000068C4: D89A7700 00008C14
	ds_write_b64 v20, v[142:143] offset:30976                  // 0000000068CC: D89A7900 00008E14
	v_mfma_f32_16x16x16_bf16 v[56:59], a[88:89], a[16:17], v[56:59]// 0000000068D4: D3E10038 1CE22158
	ds_read_b128 v[104:107], v12 offset:19584                  // 0000000068DC: D9FE4C80 6800000C
	v_mfma_f32_16x16x16_bf16 v[56:59], a[90:91], a[18:19], v[56:59]// 0000000068E4: D3E10038 1CE2255A
	ds_read_b128 v[108:111], v12 offset:20096                  // 0000000068EC: D9FE4E80 6C00000C
	v_mfma_f32_16x16x16_bf16 v[56:59], a[92:93], a[20:21], v[56:59]// 0000000068F4: D3E10038 1CE2295C
	ds_read_b128 v[112:115], v12 offset:21760                  // 0000000068FC: D9FE5500 7000000C
	ds_read_b128 v[116:119], v12 offset:22272                  // 000000006904: D9FE5700 7400000C
	v_mfma_f32_16x16x16_bf16 v[56:59], a[94:95], a[22:23], v[56:59]// 00000000690C: D3E10038 1CE22D5E
	ds_read_b128 v[120:123], v12 offset:23936                  // 000000006914: D9FE5D80 7800000C
	ds_read_b128 v[124:127], v12 offset:24448                  // 00000000691C: D9FE5F80 7C00000C
	s_cmp_lt_i32 s81, 64                                       // 000000006924: BF04C051
	s_cbranch_scc0 label_0A5A                                  // 000000006928: BF84000F
	v_and_b32_e32 v28, 15, v0                                  // 00000000692C: 2638008F
	v_mul_i32_i24_e64 v29, s46, 16                             // 000000006930: D106001D 0001202E
	v_add_u32_e32 v28, v28, v29                                // 000000006938: 68383B1C
	v_cmp_lt_u32_e64 s[60:61], v28, s81                        // 00000000693C: D0C9003C 0000A31C
	s_nop 1                                                    // 000000006944: BF800001
	v_cndmask_b32_e64 v56, v159, v56, s[60:61]                 // 000000006948: D1000038 00F2719F
	v_cndmask_b32_e64 v57, v159, v57, s[60:61]                 // 000000006950: D1000039 00F2739F
	v_cndmask_b32_e64 v58, v159, v58, s[60:61]                 // 000000006958: D100003A 00F2759F
	v_cndmask_b32_e64 v59, v159, v59, s[60:61]                 // 000000006960: D100003B 00F2779F

0000000000006968 <label_0A5A>:
	s_waitcnt lgkmcnt(6)                                       // 000000006968: BF8CC67F
	s_barrier                                                  // 00000000696C: BF8A0000
	v_mfma_f32_16x16x16_bf16 v[64:67], v[80:81], a[48:49], 0   // 000000006970: D3E10040 12026150
	v_fma_f32 v56, v56, s57, -v128                             // 000000006978: D1CB0038 86007338
	v_fma_f32 v57, v57, s57, -v129                             // 000000006980: D1CB0039 86047339
	v_fma_f32 v58, v58, s57, -v130                             // 000000006988: D1CB003A 8608733A
	v_fma_f32 v59, v59, s57, -v131                             // 000000006990: D1CB003B 860C733B
	v_mfma_f32_16x16x16_bf16 v[64:67], v[82:83], a[50:51], v[64:67]// 000000006998: D3E10040 15026552
	ds_read_b128 a[72:75], v12 offset:6528                     // 0000000069A0: DBFE1980 4800000C
	ds_read_b128 a[76:79], v12 offset:7040                     // 0000000069A8: DBFE1B80 4C00000C
	ds_write_b32 v11, v38                                      // 0000000069B0: D81A0000 0000260B
	ds_write_b32 v11, v39 offset:1056                          // 0000000069B8: D81A0420 0000270B
	v_mfma_f32_16x16x16_bf16 v[64:67], v[84:85], a[52:53], v[64:67]// 0000000069C0: D3E10040 15026954
	v_exp_f32_e32 v56, v56                                     // 0000000069C8: 7E704138
	v_mfma_f32_16x16x16_bf16 v[64:67], v[86:87], a[54:55], v[64:67]// 0000000069CC: D3E10040 15026D56
	ds_read_b128 a[80:83], v12 offset:8704                     // 0000000069D4: DBFE2200 5000000C
	ds_read_b128 a[84:87], v12 offset:9216                     // 0000000069DC: DBFE2400 5400000C
	ds_write_b32 v11, v40 offset:2176                          // 0000000069E4: D81A0880 0000280B
	v_mfma_f32_16x16x16_bf16 v[64:67], v[88:89], a[56:57], v[64:67]// 0000000069EC: D3E10040 15027158
	v_exp_f32_e32 v57, v57                                     // 0000000069F4: 7E724139
	v_mfma_f32_16x16x16_bf16 v[64:67], v[90:91], a[58:59], v[64:67]// 0000000069F8: D3E10040 1502755A
	ds_read_b128 a[88:91], v12 offset:10880                    // 000000006A00: DBFE2A80 5800000C
	ds_read_b128 a[92:95], v12 offset:11392                    // 000000006A08: DBFE2C80 5C00000C
	ds_write_b32 v11, v41 offset:3232                          // 000000006A10: D81A0CA0 0000290B
	v_mfma_f32_16x16x16_bf16 v[64:67], v[92:93], a[60:61], v[64:67]// 000000006A18: D3E10040 1502795C
	v_exp_f32_e32 v58, v58                                     // 000000006A20: 7E74413A
	v_mfma_f32_16x16x16_bf16 v[64:67], v[94:95], a[62:63], v[64:67]// 000000006A24: D3E10040 15027D5E
	ds_read_b64 v[144:145], v19 offset:28416                   // 000000006A2C: D8EC6F00 90000013
	ds_read_b64 v[146:147], v19 offset:30464                   // 000000006A34: D8EC7700 92000013
	ds_read_b64 v[148:149], v19 offset:32512                   // 000000006A3C: D8EC7F00 94000013
	ds_write_b32 v11, v42 offset:4352                          // 000000006A44: D81A1100 00002A0B
	v_mfma_f32_16x16x16_bf16 v[64:67], v[96:97], a[64:65], v[64:67]// 000000006A4C: D3E10040 15028160
	v_exp_f32_e32 v59, v59                                     // 000000006A54: 7E76413B
	v_mfma_f32_16x16x16_bf16 v[64:67], v[98:99], a[66:67], v[64:67]// 000000006A58: D3E10040 15028562
	ds_read_b64 v[150:151], v19 offset:34560                   // 000000006A60: D8EC8700 96000013
	ds_read_b64 v[152:153], v19 offset:36608                   // 000000006A68: D8EC8F00 98000013
	ds_read_b64 v[154:155], v19 offset:38656                   // 000000006A70: D8EC9700 9A000013
	ds_write_b32 v11, v43 offset:5408                          // 000000006A78: D81A1520 00002B0B
	v_mfma_f32_16x16x16_bf16 v[64:67], v[100:101], a[68:69], v[64:67]// 000000006A80: D3E10040 15028964
	v_cmp_u_f32_e64 s[74:75], v56, v56                         // 000000006A88: D048004A 00027138
	v_add3_u32 v208, v56, v211, 1                              // 000000006A90: D1FF00D0 0207A738
	v_cndmask_b32_e64 v28, v208, v210, s[74:75]                // 000000006A98: D100001C 012BA5D0
	v_cmp_u_f32_e64 s[74:75], v57, v57                         // 000000006AA0: D048004A 00027339
	v_add3_u32 v208, v57, v211, 1                              // 000000006AA8: D1FF00D0 0207A739
	v_cndmask_b32_e64 v29, v208, v210, s[74:75]                // 000000006AB0: D100001D 012BA5D0
	v_perm_b32 v156, v29, v28, s64                             // 000000006AB8: D1ED009C 0102391D
	v_mfma_f32_16x16x16_bf16 v[64:67], v[102:103], a[70:71], v[64:67]// 000000006AC0: D3E10040 15028D66
	v_cmp_u_f32_e64 s[74:75], v58, v58                         // 000000006AC8: D048004A 0002753A
	v_add3_u32 v208, v58, v211, 1                              // 000000006AD0: D1FF00D0 0207A73A
	v_cndmask_b32_e64 v28, v208, v210, s[74:75]                // 000000006AD8: D100001C 012BA5D0
	v_cmp_u_f32_e64 s[74:75], v59, v59                         // 000000006AE0: D048004A 0002773B
	v_add3_u32 v208, v59, v211, 1                              // 000000006AE8: D1FF00D0 0207A73B
	v_cndmask_b32_e64 v29, v208, v210, s[74:75]                // 000000006AF0: D100001D 012BA5D0
	v_perm_b32 v157, v29, v28, s64                             // 000000006AF8: D1ED009D 0102391D
	v_add_u32_e32 v7, s66, v7                                  // 000000006B00: 680E0E42
	v_add_u32_e32 v8, s66, v8                                  // 000000006B04: 68101042
	s_waitcnt lgkmcnt(0)                                       // 000000006B08: BF8CC07F
	s_barrier                                                  // 000000006B0C: BF8A0000
	v_mfma_f32_16x16x16_bf16 v[160:163], v[104:105], v[156:157], v[160:163]// 000000006B10: D3E100A0 06833968
	v_subrev_f32_dpp v64, v158, v64 quad_perm:[0,0,0,0] row_mask:0xf bank_mask:0xf// 000000006B18: 068080FA FF00009E
	v_subrev_f32_dpp v65, v158, v65 quad_perm:[1,1,1,1] row_mask:0xf bank_mask:0xf// 000000006B20: 068282FA FF00559E
	buffer_atomic_add_f32 v144, v7, s[32:35], 0 offen          // 000000006B28: E1341000 80089007
	v_mfma_f32_16x16x16_bf16 v[164:167], v[106:107], v[156:157], v[164:167]// 000000006B30: D3E100A4 0693396A
	v_subrev_f32_dpp v66, v158, v66 quad_perm:[2,2,2,2] row_mask:0xf bank_mask:0xf// 000000006B38: 068484FA FF00AA9E
	v_subrev_f32_dpp v67, v158, v67 quad_perm:[3,3,3,3] row_mask:0xf bank_mask:0xf// 000000006B40: 068686FA FF00FF9E
	buffer_atomic_add_f32 v145, v8, s[32:35], 0 offen          // 000000006B48: E1341000 80089108
	v_mfma_f32_16x16x16_bf16 v[168:171], v[108:109], v[156:157], v[168:171]// 000000006B50: D3E100A8 06A3396C
	v_mul_f32_e32 v64, v56, v64                                // 000000006B58: 0A808138
	v_mul_f32_e32 v65, v57, v65                                // 000000006B5C: 0A828339
	buffer_atomic_add_f32 v146, v7, s[32:35], 0 offen offset:128// 000000006B60: E1341080 80089207
	v_mfma_f32_16x16x16_bf16 v[172:175], v[110:111], v[156:157], v[172:175]// 000000006B68: D3E100AC 06B3396E
	v_mul_f32_e32 v66, v58, v66                                // 000000006B70: 0A84853A
	v_mul_f32_e32 v67, v59, v67                                // 000000006B74: 0A86873B
	buffer_atomic_add_f32 v147, v8, s[32:35], 0 offen offset:128// 000000006B78: E1341080 80089308
	v_mfma_f32_16x16x16_bf16 v[176:179], v[112:113], v[156:157], v[176:179]// 000000006B80: D3E100B0 06C33970
	v_cmp_u_f32_e64 s[74:75], v64, v64                         // 000000006B88: D048004A 00028140
	v_add3_u32 v208, v64, v211, 1                              // 000000006B90: D1FF00D0 0207A740
	v_cndmask_b32_e64 v28, v208, v210, s[74:75]                // 000000006B98: D100001C 012BA5D0
	v_cmp_u_f32_e64 s[74:75], v65, v65                         // 000000006BA0: D048004A 00028341
	v_add3_u32 v208, v65, v211, 1                              // 000000006BA8: D1FF00D0 0207A741
	v_cndmask_b32_e64 v29, v208, v210, s[74:75]                // 000000006BB0: D100001D 012BA5D0
	v_perm_b32 v64, v29, v28, s64                              // 000000006BB8: D1ED0040 0102391D
	v_mfma_f32_16x16x16_bf16 v[180:183], v[114:115], v[156:157], v[180:183]// 000000006BC0: D3E100B4 06D33972
	v_cmp_u_f32_e64 s[74:75], v66, v66                         // 000000006BC8: D048004A 00028542
	v_add3_u32 v208, v66, v211, 1                              // 000000006BD0: D1FF00D0 0207A742
	v_cndmask_b32_e64 v28, v208, v210, s[74:75]                // 000000006BD8: D100001C 012BA5D0
	v_cmp_u_f32_e64 s[74:75], v67, v67                         // 000000006BE0: D048004A 00028743
	v_add3_u32 v208, v67, v211, 1                              // 000000006BE8: D1FF00D0 0207A743
	v_cndmask_b32_e64 v29, v208, v210, s[74:75]                // 000000006BF0: D100001D 012BA5D0
	v_perm_b32 v65, v29, v28, s64                              // 000000006BF8: D1ED0041 0102391D
	v_mfma_f32_16x16x16_bf16 v[184:187], v[116:117], v[156:157], v[184:187]// 000000006C00: D3E100B8 06E33974
	v_mov_b32_dpp v16, v64 quad_perm:[1,0,3,2] row_mask:0xf bank_mask:0xf// 000000006C08: 7E2002FA FF00B140
	v_perm_b32 v56, v16, v64, v15                              // 000000006C10: D1ED0038 043E8110
	buffer_atomic_add_f32 v148, v7, s[32:35], 0 offen offset:256// 000000006C18: E1341100 80089407
	v_mfma_f32_16x16x16_bf16 v[188:191], v[118:119], v[156:157], v[188:191]// 000000006C20: D3E100BC 06F33976
	v_mov_b32_dpp v16, v65 quad_perm:[1,0,3,2] row_mask:0xf bank_mask:0xf// 000000006C28: 7E2002FA FF00B141
	v_perm_b32 v57, v16, v65, v15                              // 000000006C30: D1ED0039 043E8310
	buffer_atomic_add_f32 v149, v8, s[32:35], 0 offen offset:256// 000000006C38: E1341100 80089508
	v_mfma_f32_16x16x16_bf16 v[192:195], v[120:121], v[156:157], v[192:195]// 000000006C40: D3E100C0 07033978
	ds_write_b32 v13, v68 offset:6528                          // 000000006C48: D81A1980 0000440D
	ds_write_b32 v13, v69 offset:7584                          // 000000006C50: D81A1DA0 0000450D
	v_mfma_f32_16x16x16_bf16 v[196:199], v[122:123], v[156:157], v[196:199]// 000000006C58: D3E100C4 0713397A
	ds_write_b32 v18, v56 offset:26112                         // 000000006C60: D81A6600 00003812
	ds_write_b32 v18, v57 offset:26656                         // 000000006C68: D81A6820 00003912
	v_mfma_f32_16x16x16_bf16 v[200:203], v[124:125], v[156:157], v[200:203]// 000000006C70: D3E100C8 0723397C
	ds_write_b32 v13, v70 offset:8704                          // 000000006C78: D81A2200 0000460D
	ds_write_b32 v13, v71 offset:9760                          // 000000006C80: D81A2620 0000470D
	v_mfma_f32_16x16x16_bf16 v[204:207], v[126:127], v[156:157], v[204:207]// 000000006C88: D3E100CC 0733397E
	ds_write_b32 v13, v72 offset:10880                         // 000000006C90: D81A2A80 0000480D
	ds_write_b32 v13, v73 offset:11936                         // 000000006C98: D81A2EA0 0000490D
	s_barrier                                                  // 000000006CA0: BF8A0000
	v_mfma_f32_16x16x16_bf16 a[96:99], a[72:73], v[64:65], a[96:99]// 000000006CA4: D3E18060 0D828148
	ds_read_b32 v128, v21 offset:41216                         // 000000006CAC: D86CA100 80000015
	ds_read_b32 v158, v21 offset:41472                         // 000000006CB4: D86CA200 9E000015
	v_mfma_f32_16x16x16_bf16 a[100:103], a[74:75], v[64:65], a[100:103]// 000000006CBC: D3E18064 0D92814A
	buffer_atomic_add_f32 v150, v7, s[32:35], 0 offen offset:384// 000000006CC4: E1341180 80089607
	buffer_atomic_add_f32 v151, v8, s[32:35], 0 offen offset:384// 000000006CCC: E1341180 80089708
	v_mfma_f32_16x16x16_bf16 a[104:107], a[76:77], v[64:65], a[104:107]// 000000006CD4: D3E18068 0DA2814C
	s_waitcnt lgkmcnt(6)                                       // 000000006CDC: BF8CC67F
	s_barrier                                                  // 000000006CE0: BF8A0000
	v_mfma_f32_16x16x16_bf16 a[108:111], a[78:79], v[64:65], a[108:111]// 000000006CE4: D3E1806C 0DB2814E
	s_mov_b64 exec, s[88:89]                                   // 000000006CEC: BEFE0158
	buffer_atomic_add_f32 v152, v7, s[32:35], 0 offen offset:512// 000000006CF0: E1341200 80089807
	s_mov_b64 exec, s[84:85]                                   // 000000006CF8: BEFE0154
	v_mfma_f32_16x16x16_bf16 a[112:115], a[80:81], v[64:65], a[112:115]// 000000006CFC: D3E18070 0DC28150
	ds_read_b128 v[56:59], v17 offset:26112                    // 000000006D04: D9FE6600 38000011
	v_mfma_f32_16x16x16_bf16 a[116:119], a[82:83], v[64:65], a[116:119]// 000000006D0C: D3E18074 0DD28152
	s_mov_b64 exec, s[88:89]                                   // 000000006D14: BEFE0158
	buffer_atomic_add_f32 v153, v8, s[32:35], 0 offen offset:512// 000000006D18: E1341200 80089908
	s_mov_b64 exec, s[84:85]                                   // 000000006D20: BEFE0154
	v_mfma_f32_16x16x16_bf16 a[120:123], a[84:85], v[64:65], a[120:123]// 000000006D24: D3E18078 0DE28154
	ds_read_b128 v[60:63], v17 offset:27264                    // 000000006D2C: D9FE6A80 3C000011
	v_mfma_f32_16x16x16_bf16 a[124:127], a[86:87], v[64:65], a[124:127]// 000000006D34: D3E1807C 0DF28156
	s_mov_b64 exec, s[90:91]                                   // 000000006D3C: BEFE015A
	buffer_atomic_add_f32 v154, v7, s[32:35], 0 offen offset:640// 000000006D40: E1341280 80089A07
	s_mov_b64 exec, s[84:85]                                   // 000000006D48: BEFE0154
	v_mfma_f32_16x16x16_bf16 a[128:131], a[88:89], v[64:65], a[128:131]// 000000006D4C: D3E18080 0E028158
	ds_write_b32 v13, v74 offset:19584                         // 000000006D54: D81A4C80 00004A0D
	ds_write_b32 v13, v75 offset:20640                         // 000000006D5C: D81A50A0 00004B0D
	v_mfma_f32_16x16x16_bf16 a[132:135], a[90:91], v[64:65], a[132:135]// 000000006D64: D3E18084 0E12815A
	s_mov_b64 exec, s[90:91]                                   // 000000006D6C: BEFE015A
	buffer_atomic_add_f32 v155, v8, s[32:35], 0 offen offset:640// 000000006D70: E1341280 80089B08
	s_mov_b64 exec, s[84:85]                                   // 000000006D78: BEFE0154
	v_mfma_f32_16x16x16_bf16 a[136:139], a[92:93], v[64:65], a[136:139]// 000000006D7C: D3E18088 0E22815C
	ds_write_b32 v13, v76 offset:21760                         // 000000006D84: D81A5500 00004C0D
	ds_write_b32 v13, v77 offset:22816                         // 000000006D8C: D81A5920 00004D0D
	v_mfma_f32_16x16x16_bf16 a[140:143], a[94:95], v[64:65], a[140:143]// 000000006D94: D3E1808C 0E32815E
	ds_write_b32 v13, v78 offset:23936                         // 000000006D9C: D81A5D80 00004E0D
	ds_write_b32 v13, v79 offset:24992                         // 000000006DA4: D81A61A0 00004F0D
	s_waitcnt vmcnt(12) lgkmcnt(6)                             // 000000006DAC: BF8C067C
	s_barrier                                                  // 000000006DB0: BF8A0000
	v_mfma_f32_16x16x16_bf16 v[132:135], v[56:57], a[24:25], 0 // 000000006DB4: D3E10084 12023138
	ds_read_b128 a[72:75], v10                                 // 000000006DBC: DBFE0000 4800000A
	ds_read_b128 a[76:79], v10 offset:512                      // 000000006DC4: DBFE0200 4C00000A
	ds_read_b128 a[80:83], v10 offset:2176                     // 000000006DCC: DBFE0880 5000000A
	buffer_load_dword v38, v1, s[8:11], 0 idxen                // 000000006DD4: E0502000 80022601
	buffer_load_dword v39, v2, s[8:11], 0 idxen                // 000000006DDC: E0502000 80022702
	v_mfma_f32_16x16x16_bf16 v[132:135], v[58:59], a[30:31], v[132:135]// 000000006DE4: D3E10084 16123D3A
	v_mul_f32_e32 v128, s48, v128                              // 000000006DEC: 0B010030
	v_perm_b32 v68, v33, v32, s63                              // 000000006DF0: D1ED0044 00FE4121
	v_perm_b32 v69, v33, v32, s64                              // 000000006DF8: D1ED0045 01024121
	v_perm_b32 v70, v35, v34, s63                              // 000000006E00: D1ED0046 00FE4523
	v_mfma_f32_16x16x16_bf16 v[132:135], v[60:61], a[36:37], v[132:135]// 000000006E08: D3E10084 1612493C
	ds_read_b128 a[84:87], v10 offset:2688                     // 000000006E10: DBFE0A80 5400000A
	ds_read_b128 a[88:91], v10 offset:4352                     // 000000006E18: DBFE1100 5800000A
	ds_read_b128 a[92:95], v10 offset:4864                     // 000000006E20: DBFE1300 5C00000A
	buffer_load_dword v40, v1, s[8:11], 0 idxen offset:128     // 000000006E28: E0502080 80022801
	buffer_load_dword v41, v2, s[8:11], 0 idxen offset:128     // 000000006E30: E0502080 80022902
	v_mfma_f32_16x16x16_bf16 v[132:135], v[62:63], a[42:43], v[132:135]// 000000006E38: D3E10084 1612553E
	v_perm_b32 v71, v35, v34, s64                              // 000000006E40: D1ED0047 01024523
	v_perm_b32 v72, v37, v36, s63                              // 000000006E48: D1ED0048 00FE4925
	v_perm_b32 v73, v37, v36, s64                              // 000000006E50: D1ED0049 01024925
	v_mfma_f32_16x16x16_bf16 v[136:139], v[56:57], a[26:27], 0 // 000000006E58: D3E10088 12023538
	ds_read_b128 v[80:83], v10 offset:13056                    // 000000006E60: D9FE3300 5000000A
	ds_read_b128 v[84:87], v10 offset:13568                    // 000000006E68: D9FE3500 5400000A
	ds_read_b128 v[88:91], v10 offset:15232                    // 000000006E70: D9FE3B80 5800000A
	buffer_load_dword v50, v212, s[20:23], 0 idxen             // 000000006E78: E0502000 800532D4
	buffer_load_dword v51, v213, s[20:23], 0 idxen             // 000000006E80: E0502000 800533D5
	v_mfma_f32_16x16x16_bf16 v[136:139], v[58:59], a[32:33], v[136:139]// 000000006E88: D3E10088 1622413A
	v_perm_b32 v74, v45, v44, s63                              // 000000006E90: D1ED004A 00FE592D
	v_perm_b32 v75, v45, v44, s64                              // 000000006E98: D1ED004B 0102592D
	v_perm_b32 v76, v47, v46, s63                              // 000000006EA0: D1ED004C 00FE5D2F
	v_mov_b32_dpp v131, v128 quad_perm:[3,3,3,3] row_mask:0xf bank_mask:0xf// 000000006EA8: 7F0602FA FF00FF80
	v_mov_b32_dpp v130, v128 quad_perm:[2,2,2,2] row_mask:0xf bank_mask:0xf// 000000006EB0: 7F0402FA FF00AA80
	v_mfma_f32_16x16x16_bf16 v[136:139], v[60:61], a[38:39], v[136:139]// 000000006EB8: D3E10088 16224D3C
	ds_read_b128 v[92:95], v10 offset:15744                    // 000000006EC0: D9FE3D80 5C00000A
	ds_read_b128 v[96:99], v10 offset:17408                    // 000000006EC8: D9FE4400 6000000A
	ds_read_b128 v[100:103], v10 offset:17920                  // 000000006ED0: D9FE4600 6400000A
	buffer_load_dword v52, v212, s[20:23], 0 idxen offset:128  // 000000006ED8: E0502080 800534D4
	buffer_load_dword v53, v213, s[20:23], 0 idxen offset:128  // 000000006EE0: E0502080 800535D5
	v_mfma_f32_16x16x16_bf16 v[136:139], v[62:63], a[44:45], v[136:139]// 000000006EE8: D3E10088 1622593E
	v_perm_b32 v77, v47, v46, s64                              // 000000006EF0: D1ED004D 01025D2F
	v_perm_b32 v78, v49, v48, s63                              // 000000006EF8: D1ED004E 00FE6131
	v_perm_b32 v79, v49, v48, s64                              // 000000006F00: D1ED004F 01026131
	v_mov_b32_dpp v129, v128 quad_perm:[1,1,1,1] row_mask:0xf bank_mask:0xf// 000000006F08: 7F0202FA FF005580
	v_mov_b32_dpp v128, v128 quad_perm:[0,0,0,0] row_mask:0xf bank_mask:0xf// 000000006F10: 7F0002FA FF000080
	v_mfma_f32_16x16x16_bf16 v[140:143], v[56:57], a[28:29], 0 // 000000006F18: D3E1008C 12023938
	buffer_load_dword v9, s[24:27], 0 idxen lds                // 000000006F20: E0512000 80060009
	v_mov_b32_e32 v42, 0                                       // 000000006F28: 7E540280
	s_mov_b64 exec, s[78:79]                                   // 000000006F2C: BEFE014E
	buffer_load_dword v42, v1, s[8:11], 0 idxen offset:256     // 000000006F30: E0502100 80022A01
	s_mov_b64 exec, s[84:85]                                   // 000000006F38: BEFE0154
	v_mov_b32_e32 v43, 0                                       // 000000006F3C: 7E560280
	s_mov_b64 exec, s[78:79]                                   // 000000006F40: BEFE014E
	buffer_load_dword v43, v2, s[8:11], 0 idxen offset:256     // 000000006F44: E0502100 80022B02
	s_mov_b64 exec, s[84:85]                                   // 000000006F4C: BEFE0154
	v_mfma_f32_16x16x16_bf16 v[140:143], v[58:59], a[34:35], v[140:143]// 000000006F50: D3E1008C 1632453A
	s_add_u32 s60, 64, s59                                     // 000000006F58: 803C3BC0
	s_cmp_lt_u32 s60, s58                                      // 000000006F5C: BF0A3A3C
	s_cselect_b32 s68, s68, 0                                  // 000000006F60: 85448044
	s_cselect_b32 s101, s101, 0                                // 000000006F64: 85658065
	s_cselect_b32 s69, s69, 0                                  // 000000006F68: 85458045
	v_mfma_f32_16x16x16_bf16 v[140:143], v[60:61], a[40:41], v[140:143]// 000000006F6C: D3E1008C 1632513C
	v_mov_b32_e32 v54, 0                                       // 000000006F74: 7E6C0280
	s_mov_b64 exec, s[78:79]                                   // 000000006F78: BEFE014E
	buffer_load_dword v54, v212, s[20:23], 0 idxen offset:256  // 000000006F7C: E0502100 800536D4
	s_mov_b64 exec, s[84:85]                                   // 000000006F84: BEFE0154
	v_mov_b32_e32 v55, 0                                       // 000000006F88: 7E6E0280
	s_mov_b64 exec, s[78:79]                                   // 000000006F8C: BEFE014E
	buffer_load_dword v55, v213, s[20:23], 0 idxen offset:256  // 000000006F90: E0502100 800537D5
	s_mov_b64 exec, s[84:85]                                   // 000000006F98: BEFE0154
	v_add_u32_e32 v1, s68, v1                                  // 000000006F9C: 68020244
	v_add_u32_e32 v2, s68, v2                                  // 000000006FA0: 68040444
	v_add_u32_e32 v212, s101, v212                             // 000000006FA4: 69A9A865
	v_add_u32_e32 v213, s101, v213                             // 000000006FA8: 69ABAA65
	s_mov_b32 m0, s76                                          // 000000006FAC: BEFC004C
	v_add_u32_e32 v9, s69, v9                                  // 000000006FB0: 68121245
	v_mfma_f32_16x16x16_bf16 v[140:143], v[62:63], a[46:47], v[140:143]// 000000006FB4: D3E1008C 16325D3E
	s_cmp_ge_u32 s59, 16                                       // 000000006FBC: BF09903B
	s_cselect_b32 s66, s67, s66                                // 000000006FC0: 85424243
	s_addk_i32 s59, 0x10                                       // 000000006FC4: B73B0010
	s_nop 0                                                    // 000000006FC8: BF800000
	s_cmp_lt_i32 s59, s58                                      // 000000006FCC: BF043A3B
	s_cbranch_scc0 label_09FC                                  // 000000006FD0: BF84FE07
	s_waitcnt lgkmcnt(0)                                       // 000000006FD4: BF8CC07F
	s_barrier                                                  // 000000006FD8: BF8A0000
	v_mfma_f32_16x16x16_bf16 v[56:59], a[72:73], a[0:1], 0     // 000000006FDC: D3E10038 1A020148
	v_mul_f32_e32 v132, s47, v132                              // 000000006FE4: 0B09082F
	v_mul_f32_e32 v133, s47, v133                              // 000000006FE8: 0B0B0A2F
	v_mul_f32_e32 v134, s47, v134                              // 000000006FEC: 0B0D0C2F
	v_mul_f32_e32 v135, s47, v135                              // 000000006FF0: 0B0F0E2F
	v_mfma_f32_16x16x16_bf16 v[56:59], a[74:75], a[2:3], v[56:59]// 000000006FF4: D3E10038 1CE2054A
	ds_write_b32 v11, v44 offset:13056                         // 000000006FFC: D81A3300 00002C0B
	ds_write_b32 v11, v45 offset:14112                         // 000000007004: D81A3720 00002D0B
	ds_write_b32 v11, v46 offset:15232                         // 00000000700C: D81A3B80 00002E0B
	v_mfma_f32_16x16x16_bf16 v[56:59], a[76:77], a[4:5], v[56:59]// 000000007014: D3E10038 1CE2094C
	v_mul_f32_e32 v136, s47, v136                              // 00000000701C: 0B11102F
	v_mul_f32_e32 v137, s47, v137                              // 000000007020: 0B13122F
	v_mul_f32_e32 v138, s47, v138                              // 000000007024: 0B15142F
	v_mul_f32_e32 v139, s47, v139                              // 000000007028: 0B17162F
	v_mfma_f32_16x16x16_bf16 v[56:59], a[78:79], a[6:7], v[56:59]// 00000000702C: D3E10038 1CE20D4E
	ds_write_b32 v11, v47 offset:16288                         // 000000007034: D81A3FA0 00002F0B
	ds_write_b32 v11, v48 offset:17408                         // 00000000703C: D81A4400 0000300B
	ds_write_b32 v11, v49 offset:18464                         // 000000007044: D81A4820 0000310B
	v_mfma_f32_16x16x16_bf16 v[56:59], a[80:81], a[8:9], v[56:59]// 00000000704C: D3E10038 1CE21150
	v_mul_f32_e32 v140, s47, v140                              // 000000007054: 0B19182F
	v_mul_f32_e32 v141, s47, v141                              // 000000007058: 0B1B1A2F
	v_mul_f32_e32 v142, s47, v142                              // 00000000705C: 0B1D1C2F
	v_mul_f32_e32 v143, s47, v143                              // 000000007060: 0B1F1E2F
	v_mfma_f32_16x16x16_bf16 v[56:59], a[82:83], a[10:11], v[56:59]// 000000007064: D3E10038 1CE21552
	ds_write_b64 v20, v[132:133] offset:28416                  // 00000000706C: D89A6F00 00008414
	ds_write_b64 v20, v[134:135] offset:28928                  // 000000007074: D89A7100 00008614
	v_mfma_f32_16x16x16_bf16 v[56:59], a[84:85], a[12:13], v[56:59]// 00000000707C: D3E10038 1CE21954
	ds_write_b64 v20, v[136:137] offset:29440                  // 000000007084: D89A7300 00008814
	ds_write_b64 v20, v[138:139] offset:29952                  // 00000000708C: D89A7500 00008A14
	v_mfma_f32_16x16x16_bf16 v[56:59], a[86:87], a[14:15], v[56:59]// 000000007094: D3E10038 1CE21D56
	ds_write_b64 v20, v[140:141] offset:30464                  // 00000000709C: D89A7700 00008C14
	ds_write_b64 v20, v[142:143] offset:30976                  // 0000000070A4: D89A7900 00008E14
	v_mfma_f32_16x16x16_bf16 v[56:59], a[88:89], a[16:17], v[56:59]// 0000000070AC: D3E10038 1CE22158
	ds_read_b128 v[104:107], v12 offset:19584                  // 0000000070B4: D9FE4C80 6800000C
	v_mfma_f32_16x16x16_bf16 v[56:59], a[90:91], a[18:19], v[56:59]// 0000000070BC: D3E10038 1CE2255A
	ds_read_b128 v[108:111], v12 offset:20096                  // 0000000070C4: D9FE4E80 6C00000C
	v_mfma_f32_16x16x16_bf16 v[56:59], a[92:93], a[20:21], v[56:59]// 0000000070CC: D3E10038 1CE2295C
	ds_read_b128 v[112:115], v12 offset:21760                  // 0000000070D4: D9FE5500 7000000C
	ds_read_b128 v[116:119], v12 offset:22272                  // 0000000070DC: D9FE5700 7400000C
	v_mfma_f32_16x16x16_bf16 v[56:59], a[94:95], a[22:23], v[56:59]// 0000000070E4: D3E10038 1CE22D5E
	ds_read_b128 v[120:123], v12 offset:23936                  // 0000000070EC: D9FE5D80 7800000C
	ds_read_b128 v[124:127], v12 offset:24448                  // 0000000070F4: D9FE5F80 7C00000C
	s_cmp_lt_i32 s81, 64                                       // 0000000070FC: BF04C051
	s_cbranch_scc0 label_0C50                                  // 000000007100: BF84000F
	v_and_b32_e32 v28, 15, v0                                  // 000000007104: 2638008F
	v_mul_i32_i24_e64 v29, s46, 16                             // 000000007108: D106001D 0001202E
	v_add_u32_e32 v28, v28, v29                                // 000000007110: 68383B1C
	v_cmp_lt_u32_e64 s[60:61], v28, s81                        // 000000007114: D0C9003C 0000A31C
	s_nop 1                                                    // 00000000711C: BF800001
	v_cndmask_b32_e64 v56, v159, v56, s[60:61]                 // 000000007120: D1000038 00F2719F
	v_cndmask_b32_e64 v57, v159, v57, s[60:61]                 // 000000007128: D1000039 00F2739F
	v_cndmask_b32_e64 v58, v159, v58, s[60:61]                 // 000000007130: D100003A 00F2759F
	v_cndmask_b32_e64 v59, v159, v59, s[60:61]                 // 000000007138: D100003B 00F2779F

0000000000007140 <label_0C50>:
	s_waitcnt lgkmcnt(6)                                       // 000000007140: BF8CC67F
	s_barrier                                                  // 000000007144: BF8A0000
	v_mfma_f32_16x16x16_bf16 v[64:67], v[80:81], a[48:49], 0   // 000000007148: D3E10040 12026150
	v_fma_f32 v56, v56, s57, -v128                             // 000000007150: D1CB0038 86007338
	v_fma_f32 v57, v57, s57, -v129                             // 000000007158: D1CB0039 86047339
	v_fma_f32 v58, v58, s57, -v130                             // 000000007160: D1CB003A 8608733A
	v_fma_f32 v59, v59, s57, -v131                             // 000000007168: D1CB003B 860C733B
	v_mfma_f32_16x16x16_bf16 v[64:67], v[82:83], a[50:51], v[64:67]// 000000007170: D3E10040 15026552
	ds_read_b128 a[72:75], v12 offset:6528                     // 000000007178: DBFE1980 4800000C
	ds_read_b128 a[76:79], v12 offset:7040                     // 000000007180: DBFE1B80 4C00000C
	ds_write_b32 v11, v32                                      // 000000007188: D81A0000 0000200B
	ds_write_b32 v11, v33 offset:1056                          // 000000007190: D81A0420 0000210B
	v_mfma_f32_16x16x16_bf16 v[64:67], v[84:85], a[52:53], v[64:67]// 000000007198: D3E10040 15026954
	v_exp_f32_e32 v56, v56                                     // 0000000071A0: 7E704138
	v_mfma_f32_16x16x16_bf16 v[64:67], v[86:87], a[54:55], v[64:67]// 0000000071A4: D3E10040 15026D56
	ds_read_b128 a[80:83], v12 offset:8704                     // 0000000071AC: DBFE2200 5000000C
	ds_read_b128 a[84:87], v12 offset:9216                     // 0000000071B4: DBFE2400 5400000C
	ds_write_b32 v11, v34 offset:2176                          // 0000000071BC: D81A0880 0000220B
	v_mfma_f32_16x16x16_bf16 v[64:67], v[88:89], a[56:57], v[64:67]// 0000000071C4: D3E10040 15027158
	v_exp_f32_e32 v57, v57                                     // 0000000071CC: 7E724139
	v_mfma_f32_16x16x16_bf16 v[64:67], v[90:91], a[58:59], v[64:67]// 0000000071D0: D3E10040 1502755A
	ds_read_b128 a[88:91], v12 offset:10880                    // 0000000071D8: DBFE2A80 5800000C
	ds_read_b128 a[92:95], v12 offset:11392                    // 0000000071E0: DBFE2C80 5C00000C
	ds_write_b32 v11, v35 offset:3232                          // 0000000071E8: D81A0CA0 0000230B
	v_mfma_f32_16x16x16_bf16 v[64:67], v[92:93], a[60:61], v[64:67]// 0000000071F0: D3E10040 1502795C
	v_exp_f32_e32 v58, v58                                     // 0000000071F8: 7E74413A
	v_mfma_f32_16x16x16_bf16 v[64:67], v[94:95], a[62:63], v[64:67]// 0000000071FC: D3E10040 15027D5E
	ds_read_b64 v[144:145], v19 offset:28416                   // 000000007204: D8EC6F00 90000013
	ds_read_b64 v[146:147], v19 offset:30464                   // 00000000720C: D8EC7700 92000013
	ds_read_b64 v[148:149], v19 offset:32512                   // 000000007214: D8EC7F00 94000013
	ds_write_b32 v11, v36 offset:4352                          // 00000000721C: D81A1100 0000240B
	v_mfma_f32_16x16x16_bf16 v[64:67], v[96:97], a[64:65], v[64:67]// 000000007224: D3E10040 15028160
	v_exp_f32_e32 v59, v59                                     // 00000000722C: 7E76413B
	v_mfma_f32_16x16x16_bf16 v[64:67], v[98:99], a[66:67], v[64:67]// 000000007230: D3E10040 15028562
	ds_read_b64 v[150:151], v19 offset:34560                   // 000000007238: D8EC8700 96000013
	ds_read_b64 v[152:153], v19 offset:36608                   // 000000007240: D8EC8F00 98000013
	ds_read_b64 v[154:155], v19 offset:38656                   // 000000007248: D8EC9700 9A000013
	ds_write_b32 v11, v37 offset:5408                          // 000000007250: D81A1520 0000250B
	v_mfma_f32_16x16x16_bf16 v[64:67], v[100:101], a[68:69], v[64:67]// 000000007258: D3E10040 15028964
	v_cmp_u_f32_e64 s[74:75], v56, v56                         // 000000007260: D048004A 00027138
	v_add3_u32 v208, v56, v211, 1                              // 000000007268: D1FF00D0 0207A738
	v_cndmask_b32_e64 v28, v208, v210, s[74:75]                // 000000007270: D100001C 012BA5D0
	v_cmp_u_f32_e64 s[74:75], v57, v57                         // 000000007278: D048004A 00027339
	v_add3_u32 v208, v57, v211, 1                              // 000000007280: D1FF00D0 0207A739
	v_cndmask_b32_e64 v29, v208, v210, s[74:75]                // 000000007288: D100001D 012BA5D0
	v_perm_b32 v156, v29, v28, s64                             // 000000007290: D1ED009C 0102391D
	v_mfma_f32_16x16x16_bf16 v[64:67], v[102:103], a[70:71], v[64:67]// 000000007298: D3E10040 15028D66
	v_cmp_u_f32_e64 s[74:75], v58, v58                         // 0000000072A0: D048004A 0002753A
	v_add3_u32 v208, v58, v211, 1                              // 0000000072A8: D1FF00D0 0207A73A
	v_cndmask_b32_e64 v28, v208, v210, s[74:75]                // 0000000072B0: D100001C 012BA5D0
	v_cmp_u_f32_e64 s[74:75], v59, v59                         // 0000000072B8: D048004A 0002773B
	v_add3_u32 v208, v59, v211, 1                              // 0000000072C0: D1FF00D0 0207A73B
	v_cndmask_b32_e64 v29, v208, v210, s[74:75]                // 0000000072C8: D100001D 012BA5D0
	v_perm_b32 v157, v29, v28, s64                             // 0000000072D0: D1ED009D 0102391D
	v_add_u32_e32 v7, s66, v7                                  // 0000000072D8: 680E0E42
	v_add_u32_e32 v8, s66, v8                                  // 0000000072DC: 68101042
	s_waitcnt lgkmcnt(0)                                       // 0000000072E0: BF8CC07F
	s_barrier                                                  // 0000000072E4: BF8A0000
	v_mfma_f32_16x16x16_bf16 v[160:163], v[104:105], v[156:157], v[160:163]// 0000000072E8: D3E100A0 06833968
	v_subrev_f32_dpp v64, v158, v64 quad_perm:[0,0,0,0] row_mask:0xf bank_mask:0xf// 0000000072F0: 068080FA FF00009E
	v_subrev_f32_dpp v65, v158, v65 quad_perm:[1,1,1,1] row_mask:0xf bank_mask:0xf// 0000000072F8: 068282FA FF00559E
	buffer_atomic_add_f32 v144, v7, s[32:35], 0 offen          // 000000007300: E1341000 80089007
	v_mfma_f32_16x16x16_bf16 v[164:167], v[106:107], v[156:157], v[164:167]// 000000007308: D3E100A4 0693396A
	v_subrev_f32_dpp v66, v158, v66 quad_perm:[2,2,2,2] row_mask:0xf bank_mask:0xf// 000000007310: 068484FA FF00AA9E
	v_subrev_f32_dpp v67, v158, v67 quad_perm:[3,3,3,3] row_mask:0xf bank_mask:0xf// 000000007318: 068686FA FF00FF9E
	buffer_atomic_add_f32 v145, v8, s[32:35], 0 offen          // 000000007320: E1341000 80089108
	v_mfma_f32_16x16x16_bf16 v[168:171], v[108:109], v[156:157], v[168:171]// 000000007328: D3E100A8 06A3396C
	v_mul_f32_e32 v64, v56, v64                                // 000000007330: 0A808138
	v_mul_f32_e32 v65, v57, v65                                // 000000007334: 0A828339
	buffer_atomic_add_f32 v146, v7, s[32:35], 0 offen offset:128// 000000007338: E1341080 80089207
	v_mfma_f32_16x16x16_bf16 v[172:175], v[110:111], v[156:157], v[172:175]// 000000007340: D3E100AC 06B3396E
	v_mul_f32_e32 v66, v58, v66                                // 000000007348: 0A84853A
	v_mul_f32_e32 v67, v59, v67                                // 00000000734C: 0A86873B
	buffer_atomic_add_f32 v147, v8, s[32:35], 0 offen offset:128// 000000007350: E1341080 80089308
	v_mfma_f32_16x16x16_bf16 v[176:179], v[112:113], v[156:157], v[176:179]// 000000007358: D3E100B0 06C33970
	v_cmp_u_f32_e64 s[74:75], v64, v64                         // 000000007360: D048004A 00028140
	v_add3_u32 v208, v64, v211, 1                              // 000000007368: D1FF00D0 0207A740
	v_cndmask_b32_e64 v28, v208, v210, s[74:75]                // 000000007370: D100001C 012BA5D0
	v_cmp_u_f32_e64 s[74:75], v65, v65                         // 000000007378: D048004A 00028341
	v_add3_u32 v208, v65, v211, 1                              // 000000007380: D1FF00D0 0207A741
	v_cndmask_b32_e64 v29, v208, v210, s[74:75]                // 000000007388: D100001D 012BA5D0
	v_perm_b32 v64, v29, v28, s64                              // 000000007390: D1ED0040 0102391D
	v_mfma_f32_16x16x16_bf16 v[180:183], v[114:115], v[156:157], v[180:183]// 000000007398: D3E100B4 06D33972
	v_cmp_u_f32_e64 s[74:75], v66, v66                         // 0000000073A0: D048004A 00028542
	v_add3_u32 v208, v66, v211, 1                              // 0000000073A8: D1FF00D0 0207A742
	v_cndmask_b32_e64 v28, v208, v210, s[74:75]                // 0000000073B0: D100001C 012BA5D0
	v_cmp_u_f32_e64 s[74:75], v67, v67                         // 0000000073B8: D048004A 00028743
	v_add3_u32 v208, v67, v211, 1                              // 0000000073C0: D1FF00D0 0207A743
	v_cndmask_b32_e64 v29, v208, v210, s[74:75]                // 0000000073C8: D100001D 012BA5D0
	v_perm_b32 v65, v29, v28, s64                              // 0000000073D0: D1ED0041 0102391D
	v_mfma_f32_16x16x16_bf16 v[184:187], v[116:117], v[156:157], v[184:187]// 0000000073D8: D3E100B8 06E33974
	v_mov_b32_dpp v16, v64 quad_perm:[1,0,3,2] row_mask:0xf bank_mask:0xf// 0000000073E0: 7E2002FA FF00B140
	v_perm_b32 v56, v16, v64, v15                              // 0000000073E8: D1ED0038 043E8110
	buffer_atomic_add_f32 v148, v7, s[32:35], 0 offen offset:256// 0000000073F0: E1341100 80089407
	v_mfma_f32_16x16x16_bf16 v[188:191], v[118:119], v[156:157], v[188:191]// 0000000073F8: D3E100BC 06F33976
	v_mov_b32_dpp v16, v65 quad_perm:[1,0,3,2] row_mask:0xf bank_mask:0xf// 000000007400: 7E2002FA FF00B141
	v_perm_b32 v57, v16, v65, v15                              // 000000007408: D1ED0039 043E8310
	buffer_atomic_add_f32 v149, v8, s[32:35], 0 offen offset:256// 000000007410: E1341100 80089508
	v_mfma_f32_16x16x16_bf16 v[192:195], v[120:121], v[156:157], v[192:195]// 000000007418: D3E100C0 07033978
	ds_write_b32 v13, v68 offset:6528                          // 000000007420: D81A1980 0000440D
	ds_write_b32 v13, v69 offset:7584                          // 000000007428: D81A1DA0 0000450D
	v_mfma_f32_16x16x16_bf16 v[196:199], v[122:123], v[156:157], v[196:199]// 000000007430: D3E100C4 0713397A
	ds_write_b32 v18, v56 offset:26112                         // 000000007438: D81A6600 00003812
	ds_write_b32 v18, v57 offset:26656                         // 000000007440: D81A6820 00003912
	v_mfma_f32_16x16x16_bf16 v[200:203], v[124:125], v[156:157], v[200:203]// 000000007448: D3E100C8 0723397C
	ds_write_b32 v13, v70 offset:8704                          // 000000007450: D81A2200 0000460D
	ds_write_b32 v13, v71 offset:9760                          // 000000007458: D81A2620 0000470D
	v_mfma_f32_16x16x16_bf16 v[204:207], v[126:127], v[156:157], v[204:207]// 000000007460: D3E100CC 0733397E
	ds_write_b32 v13, v72 offset:10880                         // 000000007468: D81A2A80 0000480D
	ds_write_b32 v13, v73 offset:11936                         // 000000007470: D81A2EA0 0000490D
	s_barrier                                                  // 000000007478: BF8A0000
	v_mfma_f32_16x16x16_bf16 a[96:99], a[72:73], v[64:65], a[96:99]// 00000000747C: D3E18060 0D828148
	ds_read_b32 v128, v21 offset:40704                         // 000000007484: D86C9F00 80000015
	ds_read_b32 v158, v21 offset:40960                         // 00000000748C: D86CA000 9E000015
	v_mfma_f32_16x16x16_bf16 a[100:103], a[74:75], v[64:65], a[100:103]// 000000007494: D3E18064 0D92814A
	buffer_atomic_add_f32 v150, v7, s[32:35], 0 offen offset:384// 00000000749C: E1341180 80089607
	buffer_atomic_add_f32 v151, v8, s[32:35], 0 offen offset:384// 0000000074A4: E1341180 80089708
	v_mfma_f32_16x16x16_bf16 a[104:107], a[76:77], v[64:65], a[104:107]// 0000000074AC: D3E18068 0DA2814C
	s_waitcnt lgkmcnt(6)                                       // 0000000074B4: BF8CC67F
	s_barrier                                                  // 0000000074B8: BF8A0000
	v_mfma_f32_16x16x16_bf16 a[108:111], a[78:79], v[64:65], a[108:111]// 0000000074BC: D3E1806C 0DB2814E
	s_mov_b64 exec, s[88:89]                                   // 0000000074C4: BEFE0158
	buffer_atomic_add_f32 v152, v7, s[32:35], 0 offen offset:512// 0000000074C8: E1341200 80089807
	s_mov_b64 exec, s[84:85]                                   // 0000000074D0: BEFE0154
	v_mfma_f32_16x16x16_bf16 a[112:115], a[80:81], v[64:65], a[112:115]// 0000000074D4: D3E18070 0DC28150
	ds_read_b128 v[56:59], v17 offset:26112                    // 0000000074DC: D9FE6600 38000011
	v_mfma_f32_16x16x16_bf16 a[116:119], a[82:83], v[64:65], a[116:119]// 0000000074E4: D3E18074 0DD28152
	s_mov_b64 exec, s[88:89]                                   // 0000000074EC: BEFE0158
	buffer_atomic_add_f32 v153, v8, s[32:35], 0 offen offset:512// 0000000074F0: E1341200 80089908
	s_mov_b64 exec, s[84:85]                                   // 0000000074F8: BEFE0154
	v_mfma_f32_16x16x16_bf16 a[120:123], a[84:85], v[64:65], a[120:123]// 0000000074FC: D3E18078 0DE28154
	ds_read_b128 v[60:63], v17 offset:27264                    // 000000007504: D9FE6A80 3C000011
	v_mfma_f32_16x16x16_bf16 a[124:127], a[86:87], v[64:65], a[124:127]// 00000000750C: D3E1807C 0DF28156
	s_mov_b64 exec, s[90:91]                                   // 000000007514: BEFE015A
	buffer_atomic_add_f32 v154, v7, s[32:35], 0 offen offset:640// 000000007518: E1341280 80089A07
	s_mov_b64 exec, s[84:85]                                   // 000000007520: BEFE0154
	v_mfma_f32_16x16x16_bf16 a[128:131], a[88:89], v[64:65], a[128:131]// 000000007524: D3E18080 0E028158
	ds_write_b32 v13, v74 offset:19584                         // 00000000752C: D81A4C80 00004A0D
	ds_write_b32 v13, v75 offset:20640                         // 000000007534: D81A50A0 00004B0D
	v_mfma_f32_16x16x16_bf16 a[132:135], a[90:91], v[64:65], a[132:135]// 00000000753C: D3E18084 0E12815A
	s_mov_b64 exec, s[90:91]                                   // 000000007544: BEFE015A
	buffer_atomic_add_f32 v155, v8, s[32:35], 0 offen offset:640// 000000007548: E1341280 80089B08
	s_mov_b64 exec, s[84:85]                                   // 000000007550: BEFE0154
	v_mfma_f32_16x16x16_bf16 a[136:139], a[92:93], v[64:65], a[136:139]// 000000007554: D3E18088 0E22815C
	ds_write_b32 v13, v76 offset:21760                         // 00000000755C: D81A5500 00004C0D
	ds_write_b32 v13, v77 offset:22816                         // 000000007564: D81A5920 00004D0D
	v_mfma_f32_16x16x16_bf16 a[140:143], a[94:95], v[64:65], a[140:143]// 00000000756C: D3E1808C 0E32815E
	ds_write_b32 v13, v78 offset:23936                         // 000000007574: D81A5D80 00004E0D
	ds_write_b32 v13, v79 offset:24992                         // 00000000757C: D81A61A0 00004F0D
	s_waitcnt vmcnt(12) lgkmcnt(6)                             // 000000007584: BF8C067C
	s_barrier                                                  // 000000007588: BF8A0000
	v_mfma_f32_16x16x16_bf16 v[132:135], v[56:57], a[24:25], 0 // 00000000758C: D3E10084 12023138
	ds_read_b128 a[72:75], v10                                 // 000000007594: DBFE0000 4800000A
	ds_read_b128 a[76:79], v10 offset:512                      // 00000000759C: DBFE0200 4C00000A
	ds_read_b128 a[80:83], v10 offset:2176                     // 0000000075A4: DBFE0880 5000000A
	buffer_load_dword v32, v1, s[8:11], 0 idxen                // 0000000075AC: E0502000 80022001
	buffer_load_dword v33, v2, s[8:11], 0 idxen                // 0000000075B4: E0502000 80022102
	v_mfma_f32_16x16x16_bf16 v[132:135], v[58:59], a[30:31], v[132:135]// 0000000075BC: D3E10084 16123D3A
	v_mul_f32_e32 v128, s48, v128                              // 0000000075C4: 0B010030
	v_perm_b32 v68, v39, v38, s63                              // 0000000075C8: D1ED0044 00FE4D27
	v_perm_b32 v69, v39, v38, s64                              // 0000000075D0: D1ED0045 01024D27
	v_perm_b32 v70, v41, v40, s63                              // 0000000075D8: D1ED0046 00FE5129
	v_mfma_f32_16x16x16_bf16 v[132:135], v[60:61], a[36:37], v[132:135]// 0000000075E0: D3E10084 1612493C
	ds_read_b128 a[84:87], v10 offset:2688                     // 0000000075E8: DBFE0A80 5400000A
	ds_read_b128 a[88:91], v10 offset:4352                     // 0000000075F0: DBFE1100 5800000A
	ds_read_b128 a[92:95], v10 offset:4864                     // 0000000075F8: DBFE1300 5C00000A
	buffer_load_dword v34, v1, s[8:11], 0 idxen offset:128     // 000000007600: E0502080 80022201
	buffer_load_dword v35, v2, s[8:11], 0 idxen offset:128     // 000000007608: E0502080 80022302
	v_mfma_f32_16x16x16_bf16 v[132:135], v[62:63], a[42:43], v[132:135]// 000000007610: D3E10084 1612553E
	v_perm_b32 v71, v41, v40, s64                              // 000000007618: D1ED0047 01025129
	v_perm_b32 v72, v43, v42, s63                              // 000000007620: D1ED0048 00FE552B
	v_perm_b32 v73, v43, v42, s64                              // 000000007628: D1ED0049 0102552B
	v_mfma_f32_16x16x16_bf16 v[136:139], v[56:57], a[26:27], 0 // 000000007630: D3E10088 12023538
	ds_read_b128 v[80:83], v10 offset:13056                    // 000000007638: D9FE3300 5000000A
	ds_read_b128 v[84:87], v10 offset:13568                    // 000000007640: D9FE3500 5400000A
	ds_read_b128 v[88:91], v10 offset:15232                    // 000000007648: D9FE3B80 5800000A
	buffer_load_dword v44, v212, s[20:23], 0 idxen             // 000000007650: E0502000 80052CD4
	buffer_load_dword v45, v213, s[20:23], 0 idxen             // 000000007658: E0502000 80052DD5
	v_mfma_f32_16x16x16_bf16 v[136:139], v[58:59], a[32:33], v[136:139]// 000000007660: D3E10088 1622413A
	v_perm_b32 v74, v51, v50, s63                              // 000000007668: D1ED004A 00FE6533
	v_perm_b32 v75, v51, v50, s64                              // 000000007670: D1ED004B 01026533
	v_perm_b32 v76, v53, v52, s63                              // 000000007678: D1ED004C 00FE6935
	v_mov_b32_dpp v131, v128 quad_perm:[3,3,3,3] row_mask:0xf bank_mask:0xf// 000000007680: 7F0602FA FF00FF80
	v_mov_b32_dpp v130, v128 quad_perm:[2,2,2,2] row_mask:0xf bank_mask:0xf// 000000007688: 7F0402FA FF00AA80
	v_mfma_f32_16x16x16_bf16 v[136:139], v[60:61], a[38:39], v[136:139]// 000000007690: D3E10088 16224D3C
	ds_read_b128 v[92:95], v10 offset:15744                    // 000000007698: D9FE3D80 5C00000A
	ds_read_b128 v[96:99], v10 offset:17408                    // 0000000076A0: D9FE4400 6000000A
	ds_read_b128 v[100:103], v10 offset:17920                  // 0000000076A8: D9FE4600 6400000A
	buffer_load_dword v46, v212, s[20:23], 0 idxen offset:128  // 0000000076B0: E0502080 80052ED4
	buffer_load_dword v47, v213, s[20:23], 0 idxen offset:128  // 0000000076B8: E0502080 80052FD5
	v_mfma_f32_16x16x16_bf16 v[136:139], v[62:63], a[44:45], v[136:139]// 0000000076C0: D3E10088 1622593E
	v_perm_b32 v77, v53, v52, s64                              // 0000000076C8: D1ED004D 01026935
	v_perm_b32 v78, v55, v54, s63                              // 0000000076D0: D1ED004E 00FE6D37
	v_perm_b32 v79, v55, v54, s64                              // 0000000076D8: D1ED004F 01026D37
	v_mov_b32_dpp v129, v128 quad_perm:[1,1,1,1] row_mask:0xf bank_mask:0xf// 0000000076E0: 7F0202FA FF005580
	v_mov_b32_dpp v128, v128 quad_perm:[0,0,0,0] row_mask:0xf bank_mask:0xf// 0000000076E8: 7F0002FA FF000080
	v_mfma_f32_16x16x16_bf16 v[140:143], v[56:57], a[28:29], 0 // 0000000076F0: D3E1008C 12023938
	buffer_load_dword v9, s[24:27], 0 idxen lds                // 0000000076F8: E0512000 80060009
	v_mov_b32_e32 v36, 0                                       // 000000007700: 7E480280
	s_mov_b64 exec, s[78:79]                                   // 000000007704: BEFE014E
	buffer_load_dword v36, v1, s[8:11], 0 idxen offset:256     // 000000007708: E0502100 80022401
	s_mov_b64 exec, s[84:85]                                   // 000000007710: BEFE0154
	v_mov_b32_e32 v37, 0                                       // 000000007714: 7E4A0280
	s_mov_b64 exec, s[78:79]                                   // 000000007718: BEFE014E
	buffer_load_dword v37, v2, s[8:11], 0 idxen offset:256     // 00000000771C: E0502100 80022502
	s_mov_b64 exec, s[84:85]                                   // 000000007724: BEFE0154
	v_mfma_f32_16x16x16_bf16 v[140:143], v[58:59], a[34:35], v[140:143]// 000000007728: D3E1008C 1632453A
	s_add_u32 s60, 64, s59                                     // 000000007730: 803C3BC0
	s_cmp_lt_u32 s60, s58                                      // 000000007734: BF0A3A3C
	s_cselect_b32 s68, s68, 0                                  // 000000007738: 85448044
	s_cselect_b32 s101, s101, 0                                // 00000000773C: 85658065
	s_cselect_b32 s69, s69, 0                                  // 000000007740: 85458045
	v_mfma_f32_16x16x16_bf16 v[140:143], v[60:61], a[40:41], v[140:143]// 000000007744: D3E1008C 1632513C
	v_mov_b32_e32 v48, 0                                       // 00000000774C: 7E600280
	s_mov_b64 exec, s[78:79]                                   // 000000007750: BEFE014E
	buffer_load_dword v48, v212, s[20:23], 0 idxen offset:256  // 000000007754: E0502100 800530D4
	s_mov_b64 exec, s[84:85]                                   // 00000000775C: BEFE0154
	v_mov_b32_e32 v49, 0                                       // 000000007760: 7E620280
	s_mov_b64 exec, s[78:79]                                   // 000000007764: BEFE014E
	buffer_load_dword v49, v213, s[20:23], 0 idxen offset:256  // 000000007768: E0502100 800531D5
	s_mov_b64 exec, s[84:85]                                   // 000000007770: BEFE0154
	v_add_u32_e32 v1, s68, v1                                  // 000000007774: 68020244
	v_add_u32_e32 v2, s68, v2                                  // 000000007778: 68040444
	v_add_u32_e32 v212, s101, v212                             // 00000000777C: 69A9A865
	v_add_u32_e32 v213, s101, v213                             // 000000007780: 69ABAA65
	s_mov_b32 m0, s77                                          // 000000007784: BEFC004D
	v_add_u32_e32 v9, s69, v9                                  // 000000007788: 68121245
	v_mfma_f32_16x16x16_bf16 v[140:143], v[62:63], a[46:47], v[140:143]// 00000000778C: D3E1008C 16325D3E
	s_cmp_ge_u32 s59, 16                                       // 000000007794: BF09903B
	s_cselect_b32 s66, s67, s66                                // 000000007798: 85424243
	s_addk_i32 s59, 0x10                                       // 00000000779C: B73B0010
	s_nop 0                                                    // 0000000077A0: BF800000
	s_cmp_lt_i32 s59, s58                                      // 0000000077A4: BF043A3B
	s_cbranch_scc0 label_09FC                                  // 0000000077A8: BF84FC11
	s_branch label_09FF                                        // 0000000077AC: BF82FC13

00000000000077b0 <label_0DEC>:
	v_add_u32_e32 v7, s66, v7                                  // 0000000077B0: 680E0E42
	v_add_u32_e32 v8, s66, v8                                  // 0000000077B4: 68101042
	v_lshrrev_b32_e32 v28, 5, v0                               // 0000000077B8: 20380085
	v_mul_i32_i24_e32 v25, 0x44, v28                           // 0000000077BC: 0C3238FF 00000044
	v_and_b32_e32 v28, 31, v0                                  // 0000000077C4: 2638009F
	v_mul_i32_i24_e32 v29, 2, v28                              // 0000000077C8: 0C3A3882
	v_add_u32_e32 v25, v29, v25                                // 0000000077CC: 6832331D
	s_mul_i32 s60, s46, 0x660                                  // 0000000077D0: 923CFF2E 00000660
	v_add_u32_e32 v25, s60, v25                                // 0000000077D8: 6832323C
	v_lshlrev_b32_e32 v25, 2, v25                              // 0000000077DC: 24323282
	v_mul_f32_e32 v132, s47, v132                              // 0000000077E0: 0B09082F
	v_mul_f32_e32 v133, s47, v133                              // 0000000077E4: 0B0B0A2F
	v_mul_f32_e32 v134, s47, v134                              // 0000000077E8: 0B0D0C2F
	v_mul_f32_e32 v135, s47, v135                              // 0000000077EC: 0B0F0E2F
	v_mul_f32_e32 v136, s47, v136                              // 0000000077F0: 0B11102F
	v_mul_f32_e32 v137, s47, v137                              // 0000000077F4: 0B13122F
	v_mul_f32_e32 v138, s47, v138                              // 0000000077F8: 0B15142F
	v_mul_f32_e32 v139, s47, v139                              // 0000000077FC: 0B17162F
	v_mul_f32_e32 v140, s47, v140                              // 000000007800: 0B19182F
	v_mul_f32_e32 v141, s47, v141                              // 000000007804: 0B1B1A2F
	v_mul_f32_e32 v142, s47, v142                              // 000000007808: 0B1D1C2F
	v_mul_f32_e32 v143, s47, v143                              // 00000000780C: 0B1F1E2F
	ds_write_b64 v20, v[132:133] offset:28416                  // 000000007810: D89A6F00 00008414
	ds_write_b64 v20, v[134:135] offset:28928                  // 000000007818: D89A7100 00008614
	ds_write_b64 v20, v[136:137] offset:29440                  // 000000007820: D89A7300 00008814
	ds_write_b64 v20, v[138:139] offset:29952                  // 000000007828: D89A7500 00008A14
	ds_write_b64 v20, v[140:141] offset:30464                  // 000000007830: D89A7700 00008C14
	ds_write_b64 v20, v[142:143] offset:30976                  // 000000007838: D89A7900 00008E14
	s_waitcnt lgkmcnt(0)                                       // 000000007840: BF8CC07F
	s_barrier                                                  // 000000007844: BF8A0000
	ds_read_b64 v[144:145], v19 offset:28416                   // 000000007848: D8EC6F00 90000013
	ds_read_b64 v[146:147], v19 offset:30464                   // 000000007850: D8EC7700 92000013
	ds_read_b64 v[148:149], v19 offset:32512                   // 000000007858: D8EC7F00 94000013
	ds_read_b64 v[150:151], v19 offset:34560                   // 000000007860: D8EC8700 96000013
	ds_read_b64 v[152:153], v19 offset:36608                   // 000000007868: D8EC8F00 98000013
	ds_read_b64 v[154:155], v19 offset:38656                   // 000000007870: D8EC9700 9A000013
	s_waitcnt lgkmcnt(0)                                       // 000000007878: BF8CC07F
	s_barrier                                                  // 00000000787C: BF8A0000
	buffer_atomic_add_f32 v144, v7, s[32:35], 0 offen          // 000000007880: E1341000 80089007
	buffer_atomic_add_f32 v145, v8, s[32:35], 0 offen          // 000000007888: E1341000 80089108
	buffer_atomic_add_f32 v146, v7, s[32:35], 0 offen offset:128// 000000007890: E1341080 80089207
	buffer_atomic_add_f32 v147, v8, s[32:35], 0 offen offset:128// 000000007898: E1341080 80089308
	buffer_atomic_add_f32 v148, v7, s[32:35], 0 offen offset:256// 0000000078A0: E1341100 80089407
	buffer_atomic_add_f32 v149, v8, s[32:35], 0 offen offset:256// 0000000078A8: E1341100 80089508
	buffer_atomic_add_f32 v150, v7, s[32:35], 0 offen offset:384// 0000000078B0: E1341180 80089607
	buffer_atomic_add_f32 v151, v8, s[32:35], 0 offen offset:384// 0000000078B8: E1341180 80089708
	s_mov_b64 exec, s[88:89]                                   // 0000000078C0: BEFE0158
	buffer_atomic_add_f32 v152, v7, s[32:35], 0 offen offset:512// 0000000078C4: E1341200 80089807
	s_mov_b64 exec, s[84:85]                                   // 0000000078CC: BEFE0154
	s_mov_b64 exec, s[88:89]                                   // 0000000078D0: BEFE0158
	buffer_atomic_add_f32 v153, v8, s[32:35], 0 offen offset:512// 0000000078D4: E1341200 80089908
	s_mov_b64 exec, s[84:85]                                   // 0000000078DC: BEFE0154
	s_mov_b64 exec, s[90:91]                                   // 0000000078E0: BEFE015A
	buffer_atomic_add_f32 v154, v7, s[32:35], 0 offen offset:640// 0000000078E4: E1341280 80089A07
	s_mov_b64 exec, s[84:85]                                   // 0000000078EC: BEFE0154
	s_mov_b64 exec, s[90:91]                                   // 0000000078F0: BEFE015A
	buffer_atomic_add_f32 v155, v8, s[32:35], 0 offen offset:640// 0000000078F4: E1341280 80089B08
	s_mov_b64 exec, s[84:85]                                   // 0000000078FC: BEFE0154
	v_lshrrev_b32_e32 v28, 3, v0                               // 000000007900: 20380083
	v_mul_i32_i24_e32 v24, 2, v28                              // 000000007904: 0C303882
	v_and_b32_e32 v28, 7, v0                                   // 000000007908: 26380087
	v_mul_i32_i24_e32 v29, 0x44, v28                           // 00000000790C: 0C3A38FF 00000044
	v_add_u32_e32 v24, v29, v24                                // 000000007914: 6830311D
	s_mul_i32 s60, s46, 0x660                                  // 000000007918: 923CFF2E 00000660
	v_add_u32_e32 v24, s60, v24                                // 000000007920: 6830303C
	v_lshlrev_b32_e32 v24, 2, v24                              // 000000007924: 24303082
	v_accvgpr_read_b32 v30, a96                                // 000000007928: D3D8401E 18000160
	v_accvgpr_read_b32 v31, a97                                // 000000007930: D3D8401F 18000161
	v_mul_f32_e32 v30, s47, v30                                // 000000007938: 0A3C3C2F
	v_mul_f32_e32 v31, s47, v31                                // 00000000793C: 0A3E3E2F
	v_cmp_u_f32_e64 s[74:75], v30, v30                         // 000000007940: D048004A 00023D1E
	v_bfe_u32 v208, v30, 16, 1                                 // 000000007948: D1C800D0 0205211E
	v_add3_u32 v208, v30, v208, v211                           // 000000007950: D1FF00D0 074FA11E
	v_cndmask_b32_e64 v28, v208, v210, s[74:75]                // 000000007958: D100001C 012BA5D0
	v_lshrrev_b32_e32 v28, 16, v28                             // 000000007960: 20383890
	v_cmp_u_f32_e64 s[74:75], v31, v31                         // 000000007964: D048004A 00023F1F
	v_bfe_u32 v208, v31, 16, 1                                 // 00000000796C: D1C800D0 0205211F
	v_add3_u32 v208, v31, v208, v211                           // 000000007974: D1FF00D0 074FA11F
	v_cndmask_b32_e64 v29, v208, v210, s[74:75]                // 00000000797C: D100001D 012BA5D0
	v_and_or_b32 v56, v29, v209, v28                           // 000000007984: D2010038 0473A31D
	v_accvgpr_read_b32 v30, a98                                // 00000000798C: D3D8401E 18000162
	v_accvgpr_read_b32 v31, a99                                // 000000007994: D3D8401F 18000163
	v_mul_f32_e32 v30, s47, v30                                // 00000000799C: 0A3C3C2F
	v_mul_f32_e32 v31, s47, v31                                // 0000000079A0: 0A3E3E2F
	v_cmp_u_f32_e64 s[74:75], v30, v30                         // 0000000079A4: D048004A 00023D1E
	v_bfe_u32 v208, v30, 16, 1                                 // 0000000079AC: D1C800D0 0205211E
	v_add3_u32 v208, v30, v208, v211                           // 0000000079B4: D1FF00D0 074FA11E
	v_cndmask_b32_e64 v28, v208, v210, s[74:75]                // 0000000079BC: D100001C 012BA5D0
	v_lshrrev_b32_e32 v28, 16, v28                             // 0000000079C4: 20383890
	v_cmp_u_f32_e64 s[74:75], v31, v31                         // 0000000079C8: D048004A 00023F1F
	v_bfe_u32 v208, v31, 16, 1                                 // 0000000079D0: D1C800D0 0205211F
	v_add3_u32 v208, v31, v208, v211                           // 0000000079D8: D1FF00D0 074FA11F
	v_cndmask_b32_e64 v29, v208, v210, s[74:75]                // 0000000079E0: D100001D 012BA5D0
	v_and_or_b32 v57, v29, v209, v28                           // 0000000079E8: D2010039 0473A31D
	v_accvgpr_read_b32 v30, a100                               // 0000000079F0: D3D8401E 18000164
	v_accvgpr_read_b32 v31, a101                               // 0000000079F8: D3D8401F 18000165
	v_mul_f32_e32 v30, s47, v30                                // 000000007A00: 0A3C3C2F
	v_mul_f32_e32 v31, s47, v31                                // 000000007A04: 0A3E3E2F
	v_cmp_u_f32_e64 s[74:75], v30, v30                         // 000000007A08: D048004A 00023D1E
	v_bfe_u32 v208, v30, 16, 1                                 // 000000007A10: D1C800D0 0205211E
	v_add3_u32 v208, v30, v208, v211                           // 000000007A18: D1FF00D0 074FA11E
	v_cndmask_b32_e64 v28, v208, v210, s[74:75]                // 000000007A20: D100001C 012BA5D0
	v_lshrrev_b32_e32 v28, 16, v28                             // 000000007A28: 20383890
	v_cmp_u_f32_e64 s[74:75], v31, v31                         // 000000007A2C: D048004A 00023F1F
	v_bfe_u32 v208, v31, 16, 1                                 // 000000007A34: D1C800D0 0205211F
	v_add3_u32 v208, v31, v208, v211                           // 000000007A3C: D1FF00D0 074FA11F
	v_cndmask_b32_e64 v29, v208, v210, s[74:75]                // 000000007A44: D100001D 012BA5D0
	v_and_or_b32 v58, v29, v209, v28                           // 000000007A4C: D201003A 0473A31D
	v_accvgpr_read_b32 v30, a102                               // 000000007A54: D3D8401E 18000166
	v_accvgpr_read_b32 v31, a103                               // 000000007A5C: D3D8401F 18000167
	v_mul_f32_e32 v30, s47, v30                                // 000000007A64: 0A3C3C2F
	v_mul_f32_e32 v31, s47, v31                                // 000000007A68: 0A3E3E2F
	v_cmp_u_f32_e64 s[74:75], v30, v30                         // 000000007A6C: D048004A 00023D1E
	v_bfe_u32 v208, v30, 16, 1                                 // 000000007A74: D1C800D0 0205211E
	v_add3_u32 v208, v30, v208, v211                           // 000000007A7C: D1FF00D0 074FA11E
	v_cndmask_b32_e64 v28, v208, v210, s[74:75]                // 000000007A84: D100001C 012BA5D0
	v_lshrrev_b32_e32 v28, 16, v28                             // 000000007A8C: 20383890
	v_cmp_u_f32_e64 s[74:75], v31, v31                         // 000000007A90: D048004A 00023F1F
	v_bfe_u32 v208, v31, 16, 1                                 // 000000007A98: D1C800D0 0205211F
	v_add3_u32 v208, v31, v208, v211                           // 000000007AA0: D1FF00D0 074FA11F
	v_cndmask_b32_e64 v29, v208, v210, s[74:75]                // 000000007AA8: D100001D 012BA5D0
	v_and_or_b32 v59, v29, v209, v28                           // 000000007AB0: D201003B 0473A31D
	v_accvgpr_read_b32 v30, a104                               // 000000007AB8: D3D8401E 18000168
	v_accvgpr_read_b32 v31, a105                               // 000000007AC0: D3D8401F 18000169
	v_mul_f32_e32 v30, s47, v30                                // 000000007AC8: 0A3C3C2F
	v_mul_f32_e32 v31, s47, v31                                // 000000007ACC: 0A3E3E2F
	v_cmp_u_f32_e64 s[74:75], v30, v30                         // 000000007AD0: D048004A 00023D1E
	v_bfe_u32 v208, v30, 16, 1                                 // 000000007AD8: D1C800D0 0205211E
	v_add3_u32 v208, v30, v208, v211                           // 000000007AE0: D1FF00D0 074FA11E
	v_cndmask_b32_e64 v28, v208, v210, s[74:75]                // 000000007AE8: D100001C 012BA5D0
	v_lshrrev_b32_e32 v28, 16, v28                             // 000000007AF0: 20383890
	v_cmp_u_f32_e64 s[74:75], v31, v31                         // 000000007AF4: D048004A 00023F1F
	v_bfe_u32 v208, v31, 16, 1                                 // 000000007AFC: D1C800D0 0205211F
	v_add3_u32 v208, v31, v208, v211                           // 000000007B04: D1FF00D0 074FA11F
	v_cndmask_b32_e64 v29, v208, v210, s[74:75]                // 000000007B0C: D100001D 012BA5D0
	v_and_or_b32 v60, v29, v209, v28                           // 000000007B14: D201003C 0473A31D
	v_accvgpr_read_b32 v30, a106                               // 000000007B1C: D3D8401E 1800016A
	v_accvgpr_read_b32 v31, a107                               // 000000007B24: D3D8401F 1800016B
	v_mul_f32_e32 v30, s47, v30                                // 000000007B2C: 0A3C3C2F
	v_mul_f32_e32 v31, s47, v31                                // 000000007B30: 0A3E3E2F
	v_cmp_u_f32_e64 s[74:75], v30, v30                         // 000000007B34: D048004A 00023D1E
	v_bfe_u32 v208, v30, 16, 1                                 // 000000007B3C: D1C800D0 0205211E
	v_add3_u32 v208, v30, v208, v211                           // 000000007B44: D1FF00D0 074FA11E
	v_cndmask_b32_e64 v28, v208, v210, s[74:75]                // 000000007B4C: D100001C 012BA5D0
	v_lshrrev_b32_e32 v28, 16, v28                             // 000000007B54: 20383890
	v_cmp_u_f32_e64 s[74:75], v31, v31                         // 000000007B58: D048004A 00023F1F
	v_bfe_u32 v208, v31, 16, 1                                 // 000000007B60: D1C800D0 0205211F
	v_add3_u32 v208, v31, v208, v211                           // 000000007B68: D1FF00D0 074FA11F
	v_cndmask_b32_e64 v29, v208, v210, s[74:75]                // 000000007B70: D100001D 012BA5D0
	v_and_or_b32 v61, v29, v209, v28                           // 000000007B78: D201003D 0473A31D
	v_accvgpr_read_b32 v30, a108                               // 000000007B80: D3D8401E 1800016C
	v_accvgpr_read_b32 v31, a109                               // 000000007B88: D3D8401F 1800016D
	v_mul_f32_e32 v30, s47, v30                                // 000000007B90: 0A3C3C2F
	v_mul_f32_e32 v31, s47, v31                                // 000000007B94: 0A3E3E2F
	v_cmp_u_f32_e64 s[74:75], v30, v30                         // 000000007B98: D048004A 00023D1E
	v_bfe_u32 v208, v30, 16, 1                                 // 000000007BA0: D1C800D0 0205211E
	v_add3_u32 v208, v30, v208, v211                           // 000000007BA8: D1FF00D0 074FA11E
	v_cndmask_b32_e64 v28, v208, v210, s[74:75]                // 000000007BB0: D100001C 012BA5D0
	v_lshrrev_b32_e32 v28, 16, v28                             // 000000007BB8: 20383890
	v_cmp_u_f32_e64 s[74:75], v31, v31                         // 000000007BBC: D048004A 00023F1F
	v_bfe_u32 v208, v31, 16, 1                                 // 000000007BC4: D1C800D0 0205211F
	v_add3_u32 v208, v31, v208, v211                           // 000000007BCC: D1FF00D0 074FA11F
	v_cndmask_b32_e64 v29, v208, v210, s[74:75]                // 000000007BD4: D100001D 012BA5D0
	v_and_or_b32 v62, v29, v209, v28                           // 000000007BDC: D201003E 0473A31D
	v_accvgpr_read_b32 v30, a110                               // 000000007BE4: D3D8401E 1800016E
	v_accvgpr_read_b32 v31, a111                               // 000000007BEC: D3D8401F 1800016F
	v_mul_f32_e32 v30, s47, v30                                // 000000007BF4: 0A3C3C2F
	v_mul_f32_e32 v31, s47, v31                                // 000000007BF8: 0A3E3E2F
	v_cmp_u_f32_e64 s[74:75], v30, v30                         // 000000007BFC: D048004A 00023D1E
	v_bfe_u32 v208, v30, 16, 1                                 // 000000007C04: D1C800D0 0205211E
	v_add3_u32 v208, v30, v208, v211                           // 000000007C0C: D1FF00D0 074FA11E
	v_cndmask_b32_e64 v28, v208, v210, s[74:75]                // 000000007C14: D100001C 012BA5D0
	v_lshrrev_b32_e32 v28, 16, v28                             // 000000007C1C: 20383890
	v_cmp_u_f32_e64 s[74:75], v31, v31                         // 000000007C20: D048004A 00023F1F
	v_bfe_u32 v208, v31, 16, 1                                 // 000000007C28: D1C800D0 0205211F
	v_add3_u32 v208, v31, v208, v211                           // 000000007C30: D1FF00D0 074FA11F
	v_cndmask_b32_e64 v29, v208, v210, s[74:75]                // 000000007C38: D100001D 012BA5D0
	v_and_or_b32 v63, v29, v209, v28                           // 000000007C40: D201003F 0473A31D
	v_accvgpr_read_b32 v30, a112                               // 000000007C48: D3D8401E 18000170
	v_accvgpr_read_b32 v31, a113                               // 000000007C50: D3D8401F 18000171
	v_mul_f32_e32 v30, s47, v30                                // 000000007C58: 0A3C3C2F
	v_mul_f32_e32 v31, s47, v31                                // 000000007C5C: 0A3E3E2F
	v_cmp_u_f32_e64 s[74:75], v30, v30                         // 000000007C60: D048004A 00023D1E
	v_bfe_u32 v208, v30, 16, 1                                 // 000000007C68: D1C800D0 0205211E
	v_add3_u32 v208, v30, v208, v211                           // 000000007C70: D1FF00D0 074FA11E
	v_cndmask_b32_e64 v28, v208, v210, s[74:75]                // 000000007C78: D100001C 012BA5D0
	v_lshrrev_b32_e32 v28, 16, v28                             // 000000007C80: 20383890
	v_cmp_u_f32_e64 s[74:75], v31, v31                         // 000000007C84: D048004A 00023F1F
	v_bfe_u32 v208, v31, 16, 1                                 // 000000007C8C: D1C800D0 0205211F
	v_add3_u32 v208, v31, v208, v211                           // 000000007C94: D1FF00D0 074FA11F
	v_cndmask_b32_e64 v29, v208, v210, s[74:75]                // 000000007C9C: D100001D 012BA5D0
	v_and_or_b32 v64, v29, v209, v28                           // 000000007CA4: D2010040 0473A31D
	v_accvgpr_read_b32 v30, a114                               // 000000007CAC: D3D8401E 18000172
	v_accvgpr_read_b32 v31, a115                               // 000000007CB4: D3D8401F 18000173
	v_mul_f32_e32 v30, s47, v30                                // 000000007CBC: 0A3C3C2F
	v_mul_f32_e32 v31, s47, v31                                // 000000007CC0: 0A3E3E2F
	v_cmp_u_f32_e64 s[74:75], v30, v30                         // 000000007CC4: D048004A 00023D1E
	v_bfe_u32 v208, v30, 16, 1                                 // 000000007CCC: D1C800D0 0205211E
	v_add3_u32 v208, v30, v208, v211                           // 000000007CD4: D1FF00D0 074FA11E
	v_cndmask_b32_e64 v28, v208, v210, s[74:75]                // 000000007CDC: D100001C 012BA5D0
	v_lshrrev_b32_e32 v28, 16, v28                             // 000000007CE4: 20383890
	v_cmp_u_f32_e64 s[74:75], v31, v31                         // 000000007CE8: D048004A 00023F1F
	v_bfe_u32 v208, v31, 16, 1                                 // 000000007CF0: D1C800D0 0205211F
	v_add3_u32 v208, v31, v208, v211                           // 000000007CF8: D1FF00D0 074FA11F
	v_cndmask_b32_e64 v29, v208, v210, s[74:75]                // 000000007D00: D100001D 012BA5D0
	v_and_or_b32 v65, v29, v209, v28                           // 000000007D08: D2010041 0473A31D
	v_accvgpr_read_b32 v30, a116                               // 000000007D10: D3D8401E 18000174
	v_accvgpr_read_b32 v31, a117                               // 000000007D18: D3D8401F 18000175
	v_mul_f32_e32 v30, s47, v30                                // 000000007D20: 0A3C3C2F
	v_mul_f32_e32 v31, s47, v31                                // 000000007D24: 0A3E3E2F
	v_cmp_u_f32_e64 s[74:75], v30, v30                         // 000000007D28: D048004A 00023D1E
	v_bfe_u32 v208, v30, 16, 1                                 // 000000007D30: D1C800D0 0205211E
	v_add3_u32 v208, v30, v208, v211                           // 000000007D38: D1FF00D0 074FA11E
	v_cndmask_b32_e64 v28, v208, v210, s[74:75]                // 000000007D40: D100001C 012BA5D0
	v_lshrrev_b32_e32 v28, 16, v28                             // 000000007D48: 20383890
	v_cmp_u_f32_e64 s[74:75], v31, v31                         // 000000007D4C: D048004A 00023F1F
	v_bfe_u32 v208, v31, 16, 1                                 // 000000007D54: D1C800D0 0205211F
	v_add3_u32 v208, v31, v208, v211                           // 000000007D5C: D1FF00D0 074FA11F
	v_cndmask_b32_e64 v29, v208, v210, s[74:75]                // 000000007D64: D100001D 012BA5D0
	v_and_or_b32 v66, v29, v209, v28                           // 000000007D6C: D2010042 0473A31D
	v_accvgpr_read_b32 v30, a118                               // 000000007D74: D3D8401E 18000176
	v_accvgpr_read_b32 v31, a119                               // 000000007D7C: D3D8401F 18000177
	v_mul_f32_e32 v30, s47, v30                                // 000000007D84: 0A3C3C2F
	v_mul_f32_e32 v31, s47, v31                                // 000000007D88: 0A3E3E2F
	v_cmp_u_f32_e64 s[74:75], v30, v30                         // 000000007D8C: D048004A 00023D1E
	v_bfe_u32 v208, v30, 16, 1                                 // 000000007D94: D1C800D0 0205211E
	v_add3_u32 v208, v30, v208, v211                           // 000000007D9C: D1FF00D0 074FA11E
	v_cndmask_b32_e64 v28, v208, v210, s[74:75]                // 000000007DA4: D100001C 012BA5D0
	v_lshrrev_b32_e32 v28, 16, v28                             // 000000007DAC: 20383890
	v_cmp_u_f32_e64 s[74:75], v31, v31                         // 000000007DB0: D048004A 00023F1F
	v_bfe_u32 v208, v31, 16, 1                                 // 000000007DB8: D1C800D0 0205211F
	v_add3_u32 v208, v31, v208, v211                           // 000000007DC0: D1FF00D0 074FA11F
	v_cndmask_b32_e64 v29, v208, v210, s[74:75]                // 000000007DC8: D100001D 012BA5D0
	v_and_or_b32 v67, v29, v209, v28                           // 000000007DD0: D2010043 0473A31D
	v_accvgpr_read_b32 v30, a120                               // 000000007DD8: D3D8401E 18000178
	v_accvgpr_read_b32 v31, a121                               // 000000007DE0: D3D8401F 18000179
	v_mul_f32_e32 v30, s47, v30                                // 000000007DE8: 0A3C3C2F
	v_mul_f32_e32 v31, s47, v31                                // 000000007DEC: 0A3E3E2F
	v_cmp_u_f32_e64 s[74:75], v30, v30                         // 000000007DF0: D048004A 00023D1E
	v_bfe_u32 v208, v30, 16, 1                                 // 000000007DF8: D1C800D0 0205211E
	v_add3_u32 v208, v30, v208, v211                           // 000000007E00: D1FF00D0 074FA11E
	v_cndmask_b32_e64 v28, v208, v210, s[74:75]                // 000000007E08: D100001C 012BA5D0
	v_lshrrev_b32_e32 v28, 16, v28                             // 000000007E10: 20383890
	v_cmp_u_f32_e64 s[74:75], v31, v31                         // 000000007E14: D048004A 00023F1F
	v_bfe_u32 v208, v31, 16, 1                                 // 000000007E1C: D1C800D0 0205211F
	v_add3_u32 v208, v31, v208, v211                           // 000000007E24: D1FF00D0 074FA11F
	v_cndmask_b32_e64 v29, v208, v210, s[74:75]                // 000000007E2C: D100001D 012BA5D0
	v_and_or_b32 v68, v29, v209, v28                           // 000000007E34: D2010044 0473A31D
	v_accvgpr_read_b32 v30, a122                               // 000000007E3C: D3D8401E 1800017A
	v_accvgpr_read_b32 v31, a123                               // 000000007E44: D3D8401F 1800017B
	v_mul_f32_e32 v30, s47, v30                                // 000000007E4C: 0A3C3C2F
	v_mul_f32_e32 v31, s47, v31                                // 000000007E50: 0A3E3E2F
	v_cmp_u_f32_e64 s[74:75], v30, v30                         // 000000007E54: D048004A 00023D1E
	v_bfe_u32 v208, v30, 16, 1                                 // 000000007E5C: D1C800D0 0205211E
	v_add3_u32 v208, v30, v208, v211                           // 000000007E64: D1FF00D0 074FA11E
	v_cndmask_b32_e64 v28, v208, v210, s[74:75]                // 000000007E6C: D100001C 012BA5D0
	v_lshrrev_b32_e32 v28, 16, v28                             // 000000007E74: 20383890
	v_cmp_u_f32_e64 s[74:75], v31, v31                         // 000000007E78: D048004A 00023F1F
	v_bfe_u32 v208, v31, 16, 1                                 // 000000007E80: D1C800D0 0205211F
	v_add3_u32 v208, v31, v208, v211                           // 000000007E88: D1FF00D0 074FA11F
	v_cndmask_b32_e64 v29, v208, v210, s[74:75]                // 000000007E90: D100001D 012BA5D0
	v_and_or_b32 v69, v29, v209, v28                           // 000000007E98: D2010045 0473A31D
	v_accvgpr_read_b32 v30, a124                               // 000000007EA0: D3D8401E 1800017C
	v_accvgpr_read_b32 v31, a125                               // 000000007EA8: D3D8401F 1800017D
	v_mul_f32_e32 v30, s47, v30                                // 000000007EB0: 0A3C3C2F
	v_mul_f32_e32 v31, s47, v31                                // 000000007EB4: 0A3E3E2F
	v_cmp_u_f32_e64 s[74:75], v30, v30                         // 000000007EB8: D048004A 00023D1E
	v_bfe_u32 v208, v30, 16, 1                                 // 000000007EC0: D1C800D0 0205211E
	v_add3_u32 v208, v30, v208, v211                           // 000000007EC8: D1FF00D0 074FA11E
	v_cndmask_b32_e64 v28, v208, v210, s[74:75]                // 000000007ED0: D100001C 012BA5D0
	v_lshrrev_b32_e32 v28, 16, v28                             // 000000007ED8: 20383890
	v_cmp_u_f32_e64 s[74:75], v31, v31                         // 000000007EDC: D048004A 00023F1F
	v_bfe_u32 v208, v31, 16, 1                                 // 000000007EE4: D1C800D0 0205211F
	v_add3_u32 v208, v31, v208, v211                           // 000000007EEC: D1FF00D0 074FA11F
	v_cndmask_b32_e64 v29, v208, v210, s[74:75]                // 000000007EF4: D100001D 012BA5D0
	v_and_or_b32 v70, v29, v209, v28                           // 000000007EFC: D2010046 0473A31D
	v_accvgpr_read_b32 v30, a126                               // 000000007F04: D3D8401E 1800017E
	v_accvgpr_read_b32 v31, a127                               // 000000007F0C: D3D8401F 1800017F
	v_mul_f32_e32 v30, s47, v30                                // 000000007F14: 0A3C3C2F
	v_mul_f32_e32 v31, s47, v31                                // 000000007F18: 0A3E3E2F
	v_cmp_u_f32_e64 s[74:75], v30, v30                         // 000000007F1C: D048004A 00023D1E
	v_bfe_u32 v208, v30, 16, 1                                 // 000000007F24: D1C800D0 0205211E
	v_add3_u32 v208, v30, v208, v211                           // 000000007F2C: D1FF00D0 074FA11E
	v_cndmask_b32_e64 v28, v208, v210, s[74:75]                // 000000007F34: D100001C 012BA5D0
	v_lshrrev_b32_e32 v28, 16, v28                             // 000000007F3C: 20383890
	v_cmp_u_f32_e64 s[74:75], v31, v31                         // 000000007F40: D048004A 00023F1F
	v_bfe_u32 v208, v31, 16, 1                                 // 000000007F48: D1C800D0 0205211F
	v_add3_u32 v208, v31, v208, v211                           // 000000007F50: D1FF00D0 074FA11F
	v_cndmask_b32_e64 v29, v208, v210, s[74:75]                // 000000007F58: D100001D 012BA5D0
	v_and_or_b32 v71, v29, v209, v28                           // 000000007F60: D2010047 0473A31D
	v_accvgpr_read_b32 v30, a128                               // 000000007F68: D3D8401E 18000180
	v_accvgpr_read_b32 v31, a129                               // 000000007F70: D3D8401F 18000181
	v_mul_f32_e32 v30, s47, v30                                // 000000007F78: 0A3C3C2F
	v_mul_f32_e32 v31, s47, v31                                // 000000007F7C: 0A3E3E2F
	v_cmp_u_f32_e64 s[74:75], v30, v30                         // 000000007F80: D048004A 00023D1E
	v_bfe_u32 v208, v30, 16, 1                                 // 000000007F88: D1C800D0 0205211E
	v_add3_u32 v208, v30, v208, v211                           // 000000007F90: D1FF00D0 074FA11E
	v_cndmask_b32_e64 v28, v208, v210, s[74:75]                // 000000007F98: D100001C 012BA5D0
	v_lshrrev_b32_e32 v28, 16, v28                             // 000000007FA0: 20383890
	v_cmp_u_f32_e64 s[74:75], v31, v31                         // 000000007FA4: D048004A 00023F1F
	v_bfe_u32 v208, v31, 16, 1                                 // 000000007FAC: D1C800D0 0205211F
	v_add3_u32 v208, v31, v208, v211                           // 000000007FB4: D1FF00D0 074FA11F
	v_cndmask_b32_e64 v29, v208, v210, s[74:75]                // 000000007FBC: D100001D 012BA5D0
	v_and_or_b32 v72, v29, v209, v28                           // 000000007FC4: D2010048 0473A31D
	v_accvgpr_read_b32 v30, a130                               // 000000007FCC: D3D8401E 18000182
	v_accvgpr_read_b32 v31, a131                               // 000000007FD4: D3D8401F 18000183
	v_mul_f32_e32 v30, s47, v30                                // 000000007FDC: 0A3C3C2F
	v_mul_f32_e32 v31, s47, v31                                // 000000007FE0: 0A3E3E2F
	v_cmp_u_f32_e64 s[74:75], v30, v30                         // 000000007FE4: D048004A 00023D1E
	v_bfe_u32 v208, v30, 16, 1                                 // 000000007FEC: D1C800D0 0205211E
	v_add3_u32 v208, v30, v208, v211                           // 000000007FF4: D1FF00D0 074FA11E
	v_cndmask_b32_e64 v28, v208, v210, s[74:75]                // 000000007FFC: D100001C 012BA5D0
	v_lshrrev_b32_e32 v28, 16, v28                             // 000000008004: 20383890
	v_cmp_u_f32_e64 s[74:75], v31, v31                         // 000000008008: D048004A 00023F1F
	v_bfe_u32 v208, v31, 16, 1                                 // 000000008010: D1C800D0 0205211F
	v_add3_u32 v208, v31, v208, v211                           // 000000008018: D1FF00D0 074FA11F
	v_cndmask_b32_e64 v29, v208, v210, s[74:75]                // 000000008020: D100001D 012BA5D0
	v_and_or_b32 v73, v29, v209, v28                           // 000000008028: D2010049 0473A31D
	v_accvgpr_read_b32 v30, a132                               // 000000008030: D3D8401E 18000184
	v_accvgpr_read_b32 v31, a133                               // 000000008038: D3D8401F 18000185
	v_mul_f32_e32 v30, s47, v30                                // 000000008040: 0A3C3C2F
	v_mul_f32_e32 v31, s47, v31                                // 000000008044: 0A3E3E2F
	v_cmp_u_f32_e64 s[74:75], v30, v30                         // 000000008048: D048004A 00023D1E
	v_bfe_u32 v208, v30, 16, 1                                 // 000000008050: D1C800D0 0205211E
	v_add3_u32 v208, v30, v208, v211                           // 000000008058: D1FF00D0 074FA11E
	v_cndmask_b32_e64 v28, v208, v210, s[74:75]                // 000000008060: D100001C 012BA5D0
	v_lshrrev_b32_e32 v28, 16, v28                             // 000000008068: 20383890
	v_cmp_u_f32_e64 s[74:75], v31, v31                         // 00000000806C: D048004A 00023F1F
	v_bfe_u32 v208, v31, 16, 1                                 // 000000008074: D1C800D0 0205211F
	v_add3_u32 v208, v31, v208, v211                           // 00000000807C: D1FF00D0 074FA11F
	v_cndmask_b32_e64 v29, v208, v210, s[74:75]                // 000000008084: D100001D 012BA5D0
	v_and_or_b32 v74, v29, v209, v28                           // 00000000808C: D201004A 0473A31D
	v_accvgpr_read_b32 v30, a134                               // 000000008094: D3D8401E 18000186
	v_accvgpr_read_b32 v31, a135                               // 00000000809C: D3D8401F 18000187
	v_mul_f32_e32 v30, s47, v30                                // 0000000080A4: 0A3C3C2F
	v_mul_f32_e32 v31, s47, v31                                // 0000000080A8: 0A3E3E2F
	v_cmp_u_f32_e64 s[74:75], v30, v30                         // 0000000080AC: D048004A 00023D1E
	v_bfe_u32 v208, v30, 16, 1                                 // 0000000080B4: D1C800D0 0205211E
	v_add3_u32 v208, v30, v208, v211                           // 0000000080BC: D1FF00D0 074FA11E
	v_cndmask_b32_e64 v28, v208, v210, s[74:75]                // 0000000080C4: D100001C 012BA5D0
	v_lshrrev_b32_e32 v28, 16, v28                             // 0000000080CC: 20383890
	v_cmp_u_f32_e64 s[74:75], v31, v31                         // 0000000080D0: D048004A 00023F1F
	v_bfe_u32 v208, v31, 16, 1                                 // 0000000080D8: D1C800D0 0205211F
	v_add3_u32 v208, v31, v208, v211                           // 0000000080E0: D1FF00D0 074FA11F
	v_cndmask_b32_e64 v29, v208, v210, s[74:75]                // 0000000080E8: D100001D 012BA5D0
	v_and_or_b32 v75, v29, v209, v28                           // 0000000080F0: D201004B 0473A31D
	v_accvgpr_read_b32 v30, a136                               // 0000000080F8: D3D8401E 18000188
	v_accvgpr_read_b32 v31, a137                               // 000000008100: D3D8401F 18000189
	v_mul_f32_e32 v30, s47, v30                                // 000000008108: 0A3C3C2F
	v_mul_f32_e32 v31, s47, v31                                // 00000000810C: 0A3E3E2F
	v_cmp_u_f32_e64 s[74:75], v30, v30                         // 000000008110: D048004A 00023D1E
	v_bfe_u32 v208, v30, 16, 1                                 // 000000008118: D1C800D0 0205211E
	v_add3_u32 v208, v30, v208, v211                           // 000000008120: D1FF00D0 074FA11E
	v_cndmask_b32_e64 v28, v208, v210, s[74:75]                // 000000008128: D100001C 012BA5D0
	v_lshrrev_b32_e32 v28, 16, v28                             // 000000008130: 20383890
	v_cmp_u_f32_e64 s[74:75], v31, v31                         // 000000008134: D048004A 00023F1F
	v_bfe_u32 v208, v31, 16, 1                                 // 00000000813C: D1C800D0 0205211F
	v_add3_u32 v208, v31, v208, v211                           // 000000008144: D1FF00D0 074FA11F
	v_cndmask_b32_e64 v29, v208, v210, s[74:75]                // 00000000814C: D100001D 012BA5D0
	v_and_or_b32 v76, v29, v209, v28                           // 000000008154: D201004C 0473A31D
	v_accvgpr_read_b32 v30, a138                               // 00000000815C: D3D8401E 1800018A
	v_accvgpr_read_b32 v31, a139                               // 000000008164: D3D8401F 1800018B
	v_mul_f32_e32 v30, s47, v30                                // 00000000816C: 0A3C3C2F
	v_mul_f32_e32 v31, s47, v31                                // 000000008170: 0A3E3E2F
	v_cmp_u_f32_e64 s[74:75], v30, v30                         // 000000008174: D048004A 00023D1E
	v_bfe_u32 v208, v30, 16, 1                                 // 00000000817C: D1C800D0 0205211E
	v_add3_u32 v208, v30, v208, v211                           // 000000008184: D1FF00D0 074FA11E
	v_cndmask_b32_e64 v28, v208, v210, s[74:75]                // 00000000818C: D100001C 012BA5D0
	v_lshrrev_b32_e32 v28, 16, v28                             // 000000008194: 20383890
	v_cmp_u_f32_e64 s[74:75], v31, v31                         // 000000008198: D048004A 00023F1F
	v_bfe_u32 v208, v31, 16, 1                                 // 0000000081A0: D1C800D0 0205211F
	v_add3_u32 v208, v31, v208, v211                           // 0000000081A8: D1FF00D0 074FA11F
	v_cndmask_b32_e64 v29, v208, v210, s[74:75]                // 0000000081B0: D100001D 012BA5D0
	v_and_or_b32 v77, v29, v209, v28                           // 0000000081B8: D201004D 0473A31D
	v_accvgpr_read_b32 v30, a140                               // 0000000081C0: D3D8401E 1800018C
	v_accvgpr_read_b32 v31, a141                               // 0000000081C8: D3D8401F 1800018D
	v_mul_f32_e32 v30, s47, v30                                // 0000000081D0: 0A3C3C2F
	v_mul_f32_e32 v31, s47, v31                                // 0000000081D4: 0A3E3E2F
	v_cmp_u_f32_e64 s[74:75], v30, v30                         // 0000000081D8: D048004A 00023D1E
	v_bfe_u32 v208, v30, 16, 1                                 // 0000000081E0: D1C800D0 0205211E
	v_add3_u32 v208, v30, v208, v211                           // 0000000081E8: D1FF00D0 074FA11E
	v_cndmask_b32_e64 v28, v208, v210, s[74:75]                // 0000000081F0: D100001C 012BA5D0
	v_lshrrev_b32_e32 v28, 16, v28                             // 0000000081F8: 20383890
	v_cmp_u_f32_e64 s[74:75], v31, v31                         // 0000000081FC: D048004A 00023F1F
	v_bfe_u32 v208, v31, 16, 1                                 // 000000008204: D1C800D0 0205211F
	v_add3_u32 v208, v31, v208, v211                           // 00000000820C: D1FF00D0 074FA11F
	v_cndmask_b32_e64 v29, v208, v210, s[74:75]                // 000000008214: D100001D 012BA5D0
	v_and_or_b32 v78, v29, v209, v28                           // 00000000821C: D201004E 0473A31D
	v_accvgpr_read_b32 v30, a142                               // 000000008224: D3D8401E 1800018E
	v_accvgpr_read_b32 v31, a143                               // 00000000822C: D3D8401F 1800018F
	v_mul_f32_e32 v30, s47, v30                                // 000000008234: 0A3C3C2F
	v_mul_f32_e32 v31, s47, v31                                // 000000008238: 0A3E3E2F
	v_cmp_u_f32_e64 s[74:75], v30, v30                         // 00000000823C: D048004A 00023D1E
	v_bfe_u32 v208, v30, 16, 1                                 // 000000008244: D1C800D0 0205211E
	v_add3_u32 v208, v30, v208, v211                           // 00000000824C: D1FF00D0 074FA11E
	v_cndmask_b32_e64 v28, v208, v210, s[74:75]                // 000000008254: D100001C 012BA5D0
	v_lshrrev_b32_e32 v28, 16, v28                             // 00000000825C: 20383890
	v_cmp_u_f32_e64 s[74:75], v31, v31                         // 000000008260: D048004A 00023F1F
	v_bfe_u32 v208, v31, 16, 1                                 // 000000008268: D1C800D0 0205211F
	v_add3_u32 v208, v31, v208, v211                           // 000000008270: D1FF00D0 074FA11F
	v_cndmask_b32_e64 v29, v208, v210, s[74:75]                // 000000008278: D100001D 012BA5D0
	v_and_or_b32 v79, v29, v209, v28                           // 000000008280: D201004F 0473A31D
	ds_write_b64 v25, v[56:57]                                 // 000000008288: D89A0000 00003819
	ds_write_b64 v25, v[58:59] offset:544                      // 000000008290: D89A0220 00003A19
	ds_write_b64 v25, v[60:61] offset:1088                     // 000000008298: D89A0440 00003C19
	ds_write_b64 v25, v[62:63] offset:1632                     // 0000000082A0: D89A0660 00003E19
	ds_write_b64 v25, v[64:65] offset:2176                     // 0000000082A8: D89A0880 00004019
	ds_write_b64 v25, v[66:67] offset:2720                     // 0000000082B0: D89A0AA0 00004219
	ds_write_b64 v25, v[68:69] offset:3264                     // 0000000082B8: D89A0CC0 00004419
	ds_write_b64 v25, v[70:71] offset:3808                     // 0000000082C0: D89A0EE0 00004619
	ds_write_b64 v25, v[72:73] offset:4352                     // 0000000082C8: D89A1100 00004819
	ds_write_b64 v25, v[74:75] offset:4896                     // 0000000082D0: D89A1320 00004A19
	ds_write_b64 v25, v[76:77] offset:5440                     // 0000000082D8: D89A1540 00004C19
	ds_write_b64 v25, v[78:79] offset:5984                     // 0000000082E0: D89A1760 00004E19
	s_waitcnt lgkmcnt(0)                                       // 0000000082E8: BF8CC07F
	s_barrier                                                  // 0000000082EC: BF8A0000
	ds_read_b64 v[56:57], v24                                  // 0000000082F0: D8EC0000 38000018
	ds_read_b64 v[58:59], v24 offset:128                       // 0000000082F8: D8EC0080 3A000018
	ds_read_b64 v[60:61], v24 offset:64                        // 000000008300: D8EC0040 3C000018
	ds_read_b64 v[62:63], v24 offset:192                       // 000000008308: D8EC00C0 3E000018
	ds_read_b64 v[64:65], v24 offset:2176                      // 000000008310: D8EC0880 40000018
	ds_read_b64 v[66:67], v24 offset:2304                      // 000000008318: D8EC0900 42000018
	ds_read_b64 v[68:69], v24 offset:2240                      // 000000008320: D8EC08C0 44000018
	ds_read_b64 v[70:71], v24 offset:2368                      // 000000008328: D8EC0940 46000018
	ds_read_b64 v[72:73], v24 offset:4352                      // 000000008330: D8EC1100 48000018
	ds_read_b64 v[74:75], v24 offset:4480                      // 000000008338: D8EC1180 4A000018
	ds_read_b64 v[76:77], v24 offset:4416                      // 000000008340: D8EC1140 4C000018
	ds_read_b64 v[78:79], v24 offset:4544                      // 000000008348: D8EC11C0 4E000018
	s_waitcnt lgkmcnt(0)                                       // 000000008350: BF8CC07F
	buffer_store_dwordx4 v[56:59], v3, s[36:39], 0 idxen       // 000000008354: E07C2000 80093803
	v_add_u32_e32 v3, 32, v3                                   // 00000000835C: 680606A0
	buffer_store_dwordx4 v[60:63], v4, s[36:39], 0 idxen       // 000000008360: E07C2000 80093C04
	v_add_u32_e32 v4, 32, v4                                   // 000000008368: 680808A0
	buffer_store_dwordx4 v[64:67], v3, s[36:39], 0 idxen       // 00000000836C: E07C2000 80094003
	v_add_u32_e32 v3, 32, v3                                   // 000000008374: 680606A0
	buffer_store_dwordx4 v[68:71], v4, s[36:39], 0 idxen       // 000000008378: E07C2000 80094404
	v_add_u32_e32 v4, 32, v4                                   // 000000008380: 680808A0
	s_mov_b64 exec, s[86:87]                                   // 000000008384: BEFE0156
	buffer_store_dwordx4 v[72:75], v3, s[36:39], 0 idxen       // 000000008388: E07C2000 80094803
	s_mov_b64 exec, s[84:85]                                   // 000000008390: BEFE0154
	v_add_u32_e32 v3, 32, v3                                   // 000000008394: 680606A0
	s_mov_b64 exec, s[86:87]                                   // 000000008398: BEFE0156
	buffer_store_dwordx4 v[76:79], v4, s[36:39], 0 idxen       // 00000000839C: E07C2000 80094C04
	s_mov_b64 exec, s[84:85]                                   // 0000000083A4: BEFE0154
	v_add_u32_e32 v4, 32, v4                                   // 0000000083A8: 680808A0
	s_barrier                                                  // 0000000083AC: BF8A0000
	v_mov_b32_e32 v30, v160                                    // 0000000083B0: 7E3C03A0
	v_mov_b32_e32 v31, v161                                    // 0000000083B4: 7E3E03A1
	v_cmp_u_f32_e64 s[74:75], v30, v30                         // 0000000083B8: D048004A 00023D1E
	v_bfe_u32 v208, v30, 16, 1                                 // 0000000083C0: D1C800D0 0205211E
	v_add3_u32 v208, v30, v208, v211                           // 0000000083C8: D1FF00D0 074FA11E
	v_cndmask_b32_e64 v28, v208, v210, s[74:75]                // 0000000083D0: D100001C 012BA5D0
	v_lshrrev_b32_e32 v28, 16, v28                             // 0000000083D8: 20383890
	v_cmp_u_f32_e64 s[74:75], v31, v31                         // 0000000083DC: D048004A 00023F1F
	v_bfe_u32 v208, v31, 16, 1                                 // 0000000083E4: D1C800D0 0205211F
	v_add3_u32 v208, v31, v208, v211                           // 0000000083EC: D1FF00D0 074FA11F
	v_cndmask_b32_e64 v29, v208, v210, s[74:75]                // 0000000083F4: D100001D 012BA5D0
	v_and_or_b32 v160, v29, v209, v28                          // 0000000083FC: D20100A0 0473A31D
	v_mov_b32_e32 v30, v162                                    // 000000008404: 7E3C03A2
	v_mov_b32_e32 v31, v163                                    // 000000008408: 7E3E03A3
	v_cmp_u_f32_e64 s[74:75], v30, v30                         // 00000000840C: D048004A 00023D1E
	v_bfe_u32 v208, v30, 16, 1                                 // 000000008414: D1C800D0 0205211E
	v_add3_u32 v208, v30, v208, v211                           // 00000000841C: D1FF00D0 074FA11E
	v_cndmask_b32_e64 v28, v208, v210, s[74:75]                // 000000008424: D100001C 012BA5D0
	v_lshrrev_b32_e32 v28, 16, v28                             // 00000000842C: 20383890
	v_cmp_u_f32_e64 s[74:75], v31, v31                         // 000000008430: D048004A 00023F1F
	v_bfe_u32 v208, v31, 16, 1                                 // 000000008438: D1C800D0 0205211F
	v_add3_u32 v208, v31, v208, v211                           // 000000008440: D1FF00D0 074FA11F
	v_cndmask_b32_e64 v29, v208, v210, s[74:75]                // 000000008448: D100001D 012BA5D0
	v_and_or_b32 v161, v29, v209, v28                          // 000000008450: D20100A1 0473A31D
	v_mov_b32_e32 v30, v164                                    // 000000008458: 7E3C03A4
	v_mov_b32_e32 v31, v165                                    // 00000000845C: 7E3E03A5
	v_cmp_u_f32_e64 s[74:75], v30, v30                         // 000000008460: D048004A 00023D1E
	v_bfe_u32 v208, v30, 16, 1                                 // 000000008468: D1C800D0 0205211E
	v_add3_u32 v208, v30, v208, v211                           // 000000008470: D1FF00D0 074FA11E
	v_cndmask_b32_e64 v28, v208, v210, s[74:75]                // 000000008478: D100001C 012BA5D0
	v_lshrrev_b32_e32 v28, 16, v28                             // 000000008480: 20383890
	v_cmp_u_f32_e64 s[74:75], v31, v31                         // 000000008484: D048004A 00023F1F
	v_bfe_u32 v208, v31, 16, 1                                 // 00000000848C: D1C800D0 0205211F
	v_add3_u32 v208, v31, v208, v211                           // 000000008494: D1FF00D0 074FA11F
	v_cndmask_b32_e64 v29, v208, v210, s[74:75]                // 00000000849C: D100001D 012BA5D0
	v_and_or_b32 v162, v29, v209, v28                          // 0000000084A4: D20100A2 0473A31D
	v_mov_b32_e32 v30, v166                                    // 0000000084AC: 7E3C03A6
	v_mov_b32_e32 v31, v167                                    // 0000000084B0: 7E3E03A7
	v_cmp_u_f32_e64 s[74:75], v30, v30                         // 0000000084B4: D048004A 00023D1E
	v_bfe_u32 v208, v30, 16, 1                                 // 0000000084BC: D1C800D0 0205211E
	v_add3_u32 v208, v30, v208, v211                           // 0000000084C4: D1FF00D0 074FA11E
	v_cndmask_b32_e64 v28, v208, v210, s[74:75]                // 0000000084CC: D100001C 012BA5D0
	v_lshrrev_b32_e32 v28, 16, v28                             // 0000000084D4: 20383890
	v_cmp_u_f32_e64 s[74:75], v31, v31                         // 0000000084D8: D048004A 00023F1F
	v_bfe_u32 v208, v31, 16, 1                                 // 0000000084E0: D1C800D0 0205211F
	v_add3_u32 v208, v31, v208, v211                           // 0000000084E8: D1FF00D0 074FA11F
	v_cndmask_b32_e64 v29, v208, v210, s[74:75]                // 0000000084F0: D100001D 012BA5D0
	v_and_or_b32 v163, v29, v209, v28                          // 0000000084F8: D20100A3 0473A31D
	v_mov_b32_e32 v30, v168                                    // 000000008500: 7E3C03A8
	v_mov_b32_e32 v31, v169                                    // 000000008504: 7E3E03A9
	v_cmp_u_f32_e64 s[74:75], v30, v30                         // 000000008508: D048004A 00023D1E
	v_bfe_u32 v208, v30, 16, 1                                 // 000000008510: D1C800D0 0205211E
	v_add3_u32 v208, v30, v208, v211                           // 000000008518: D1FF00D0 074FA11E
	v_cndmask_b32_e64 v28, v208, v210, s[74:75]                // 000000008520: D100001C 012BA5D0
	v_lshrrev_b32_e32 v28, 16, v28                             // 000000008528: 20383890
	v_cmp_u_f32_e64 s[74:75], v31, v31                         // 00000000852C: D048004A 00023F1F
	v_bfe_u32 v208, v31, 16, 1                                 // 000000008534: D1C800D0 0205211F
	v_add3_u32 v208, v31, v208, v211                           // 00000000853C: D1FF00D0 074FA11F
	v_cndmask_b32_e64 v29, v208, v210, s[74:75]                // 000000008544: D100001D 012BA5D0
	v_and_or_b32 v164, v29, v209, v28                          // 00000000854C: D20100A4 0473A31D
	v_mov_b32_e32 v30, v170                                    // 000000008554: 7E3C03AA
	v_mov_b32_e32 v31, v171                                    // 000000008558: 7E3E03AB
	v_cmp_u_f32_e64 s[74:75], v30, v30                         // 00000000855C: D048004A 00023D1E
	v_bfe_u32 v208, v30, 16, 1                                 // 000000008564: D1C800D0 0205211E
	v_add3_u32 v208, v30, v208, v211                           // 00000000856C: D1FF00D0 074FA11E
	v_cndmask_b32_e64 v28, v208, v210, s[74:75]                // 000000008574: D100001C 012BA5D0
	v_lshrrev_b32_e32 v28, 16, v28                             // 00000000857C: 20383890
	v_cmp_u_f32_e64 s[74:75], v31, v31                         // 000000008580: D048004A 00023F1F
	v_bfe_u32 v208, v31, 16, 1                                 // 000000008588: D1C800D0 0205211F
	v_add3_u32 v208, v31, v208, v211                           // 000000008590: D1FF00D0 074FA11F
	v_cndmask_b32_e64 v29, v208, v210, s[74:75]                // 000000008598: D100001D 012BA5D0
	v_and_or_b32 v165, v29, v209, v28                          // 0000000085A0: D20100A5 0473A31D
	v_mov_b32_e32 v30, v172                                    // 0000000085A8: 7E3C03AC
	v_mov_b32_e32 v31, v173                                    // 0000000085AC: 7E3E03AD
	v_cmp_u_f32_e64 s[74:75], v30, v30                         // 0000000085B0: D048004A 00023D1E
	v_bfe_u32 v208, v30, 16, 1                                 // 0000000085B8: D1C800D0 0205211E
	v_add3_u32 v208, v30, v208, v211                           // 0000000085C0: D1FF00D0 074FA11E
	v_cndmask_b32_e64 v28, v208, v210, s[74:75]                // 0000000085C8: D100001C 012BA5D0
	v_lshrrev_b32_e32 v28, 16, v28                             // 0000000085D0: 20383890
	v_cmp_u_f32_e64 s[74:75], v31, v31                         // 0000000085D4: D048004A 00023F1F
	v_bfe_u32 v208, v31, 16, 1                                 // 0000000085DC: D1C800D0 0205211F
	v_add3_u32 v208, v31, v208, v211                           // 0000000085E4: D1FF00D0 074FA11F
	v_cndmask_b32_e64 v29, v208, v210, s[74:75]                // 0000000085EC: D100001D 012BA5D0
	v_and_or_b32 v166, v29, v209, v28                          // 0000000085F4: D20100A6 0473A31D
	v_mov_b32_e32 v30, v174                                    // 0000000085FC: 7E3C03AE
	v_mov_b32_e32 v31, v175                                    // 000000008600: 7E3E03AF
	v_cmp_u_f32_e64 s[74:75], v30, v30                         // 000000008604: D048004A 00023D1E
	v_bfe_u32 v208, v30, 16, 1                                 // 00000000860C: D1C800D0 0205211E
	v_add3_u32 v208, v30, v208, v211                           // 000000008614: D1FF00D0 074FA11E
	v_cndmask_b32_e64 v28, v208, v210, s[74:75]                // 00000000861C: D100001C 012BA5D0
	v_lshrrev_b32_e32 v28, 16, v28                             // 000000008624: 20383890
	v_cmp_u_f32_e64 s[74:75], v31, v31                         // 000000008628: D048004A 00023F1F
	v_bfe_u32 v208, v31, 16, 1                                 // 000000008630: D1C800D0 0205211F
	v_add3_u32 v208, v31, v208, v211                           // 000000008638: D1FF00D0 074FA11F
	v_cndmask_b32_e64 v29, v208, v210, s[74:75]                // 000000008640: D100001D 012BA5D0
	v_and_or_b32 v167, v29, v209, v28                          // 000000008648: D20100A7 0473A31D
	v_mov_b32_e32 v30, v176                                    // 000000008650: 7E3C03B0
	v_mov_b32_e32 v31, v177                                    // 000000008654: 7E3E03B1
	v_cmp_u_f32_e64 s[74:75], v30, v30                         // 000000008658: D048004A 00023D1E
	v_bfe_u32 v208, v30, 16, 1                                 // 000000008660: D1C800D0 0205211E
	v_add3_u32 v208, v30, v208, v211                           // 000000008668: D1FF00D0 074FA11E
	v_cndmask_b32_e64 v28, v208, v210, s[74:75]                // 000000008670: D100001C 012BA5D0
	v_lshrrev_b32_e32 v28, 16, v28                             // 000000008678: 20383890
	v_cmp_u_f32_e64 s[74:75], v31, v31                         // 00000000867C: D048004A 00023F1F
	v_bfe_u32 v208, v31, 16, 1                                 // 000000008684: D1C800D0 0205211F
	v_add3_u32 v208, v31, v208, v211                           // 00000000868C: D1FF00D0 074FA11F
	v_cndmask_b32_e64 v29, v208, v210, s[74:75]                // 000000008694: D100001D 012BA5D0
	v_and_or_b32 v168, v29, v209, v28                          // 00000000869C: D20100A8 0473A31D
	v_mov_b32_e32 v30, v178                                    // 0000000086A4: 7E3C03B2
	v_mov_b32_e32 v31, v179                                    // 0000000086A8: 7E3E03B3
	v_cmp_u_f32_e64 s[74:75], v30, v30                         // 0000000086AC: D048004A 00023D1E
	v_bfe_u32 v208, v30, 16, 1                                 // 0000000086B4: D1C800D0 0205211E
	v_add3_u32 v208, v30, v208, v211                           // 0000000086BC: D1FF00D0 074FA11E
	v_cndmask_b32_e64 v28, v208, v210, s[74:75]                // 0000000086C4: D100001C 012BA5D0
	v_lshrrev_b32_e32 v28, 16, v28                             // 0000000086CC: 20383890
	v_cmp_u_f32_e64 s[74:75], v31, v31                         // 0000000086D0: D048004A 00023F1F
	v_bfe_u32 v208, v31, 16, 1                                 // 0000000086D8: D1C800D0 0205211F
	v_add3_u32 v208, v31, v208, v211                           // 0000000086E0: D1FF00D0 074FA11F
	v_cndmask_b32_e64 v29, v208, v210, s[74:75]                // 0000000086E8: D100001D 012BA5D0
	v_and_or_b32 v169, v29, v209, v28                          // 0000000086F0: D20100A9 0473A31D
	v_mov_b32_e32 v30, v180                                    // 0000000086F8: 7E3C03B4
	v_mov_b32_e32 v31, v181                                    // 0000000086FC: 7E3E03B5
	v_cmp_u_f32_e64 s[74:75], v30, v30                         // 000000008700: D048004A 00023D1E
	v_bfe_u32 v208, v30, 16, 1                                 // 000000008708: D1C800D0 0205211E
	v_add3_u32 v208, v30, v208, v211                           // 000000008710: D1FF00D0 074FA11E
	v_cndmask_b32_e64 v28, v208, v210, s[74:75]                // 000000008718: D100001C 012BA5D0
	v_lshrrev_b32_e32 v28, 16, v28                             // 000000008720: 20383890
	v_cmp_u_f32_e64 s[74:75], v31, v31                         // 000000008724: D048004A 00023F1F
	v_bfe_u32 v208, v31, 16, 1                                 // 00000000872C: D1C800D0 0205211F
	v_add3_u32 v208, v31, v208, v211                           // 000000008734: D1FF00D0 074FA11F
	v_cndmask_b32_e64 v29, v208, v210, s[74:75]                // 00000000873C: D100001D 012BA5D0
	v_and_or_b32 v170, v29, v209, v28                          // 000000008744: D20100AA 0473A31D
	v_mov_b32_e32 v30, v182                                    // 00000000874C: 7E3C03B6
	v_mov_b32_e32 v31, v183                                    // 000000008750: 7E3E03B7
	v_cmp_u_f32_e64 s[74:75], v30, v30                         // 000000008754: D048004A 00023D1E
	v_bfe_u32 v208, v30, 16, 1                                 // 00000000875C: D1C800D0 0205211E
	v_add3_u32 v208, v30, v208, v211                           // 000000008764: D1FF00D0 074FA11E
	v_cndmask_b32_e64 v28, v208, v210, s[74:75]                // 00000000876C: D100001C 012BA5D0
	v_lshrrev_b32_e32 v28, 16, v28                             // 000000008774: 20383890
	v_cmp_u_f32_e64 s[74:75], v31, v31                         // 000000008778: D048004A 00023F1F
	v_bfe_u32 v208, v31, 16, 1                                 // 000000008780: D1C800D0 0205211F
	v_add3_u32 v208, v31, v208, v211                           // 000000008788: D1FF00D0 074FA11F
	v_cndmask_b32_e64 v29, v208, v210, s[74:75]                // 000000008790: D100001D 012BA5D0
	v_and_or_b32 v171, v29, v209, v28                          // 000000008798: D20100AB 0473A31D
	v_mov_b32_e32 v30, v184                                    // 0000000087A0: 7E3C03B8
	v_mov_b32_e32 v31, v185                                    // 0000000087A4: 7E3E03B9
	v_cmp_u_f32_e64 s[74:75], v30, v30                         // 0000000087A8: D048004A 00023D1E
	v_bfe_u32 v208, v30, 16, 1                                 // 0000000087B0: D1C800D0 0205211E
	v_add3_u32 v208, v30, v208, v211                           // 0000000087B8: D1FF00D0 074FA11E
	v_cndmask_b32_e64 v28, v208, v210, s[74:75]                // 0000000087C0: D100001C 012BA5D0
	v_lshrrev_b32_e32 v28, 16, v28                             // 0000000087C8: 20383890
	v_cmp_u_f32_e64 s[74:75], v31, v31                         // 0000000087CC: D048004A 00023F1F
	v_bfe_u32 v208, v31, 16, 1                                 // 0000000087D4: D1C800D0 0205211F
	v_add3_u32 v208, v31, v208, v211                           // 0000000087DC: D1FF00D0 074FA11F
	v_cndmask_b32_e64 v29, v208, v210, s[74:75]                // 0000000087E4: D100001D 012BA5D0
	v_and_or_b32 v172, v29, v209, v28                          // 0000000087EC: D20100AC 0473A31D
	v_mov_b32_e32 v30, v186                                    // 0000000087F4: 7E3C03BA
	v_mov_b32_e32 v31, v187                                    // 0000000087F8: 7E3E03BB
	v_cmp_u_f32_e64 s[74:75], v30, v30                         // 0000000087FC: D048004A 00023D1E
	v_bfe_u32 v208, v30, 16, 1                                 // 000000008804: D1C800D0 0205211E
	v_add3_u32 v208, v30, v208, v211                           // 00000000880C: D1FF00D0 074FA11E
	v_cndmask_b32_e64 v28, v208, v210, s[74:75]                // 000000008814: D100001C 012BA5D0
	v_lshrrev_b32_e32 v28, 16, v28                             // 00000000881C: 20383890
	v_cmp_u_f32_e64 s[74:75], v31, v31                         // 000000008820: D048004A 00023F1F
	v_bfe_u32 v208, v31, 16, 1                                 // 000000008828: D1C800D0 0205211F
	v_add3_u32 v208, v31, v208, v211                           // 000000008830: D1FF00D0 074FA11F
	v_cndmask_b32_e64 v29, v208, v210, s[74:75]                // 000000008838: D100001D 012BA5D0
	v_and_or_b32 v173, v29, v209, v28                          // 000000008840: D20100AD 0473A31D
	v_mov_b32_e32 v30, v188                                    // 000000008848: 7E3C03BC
	v_mov_b32_e32 v31, v189                                    // 00000000884C: 7E3E03BD
	v_cmp_u_f32_e64 s[74:75], v30, v30                         // 000000008850: D048004A 00023D1E
	v_bfe_u32 v208, v30, 16, 1                                 // 000000008858: D1C800D0 0205211E
	v_add3_u32 v208, v30, v208, v211                           // 000000008860: D1FF00D0 074FA11E
	v_cndmask_b32_e64 v28, v208, v210, s[74:75]                // 000000008868: D100001C 012BA5D0
	v_lshrrev_b32_e32 v28, 16, v28                             // 000000008870: 20383890
	v_cmp_u_f32_e64 s[74:75], v31, v31                         // 000000008874: D048004A 00023F1F
	v_bfe_u32 v208, v31, 16, 1                                 // 00000000887C: D1C800D0 0205211F
	v_add3_u32 v208, v31, v208, v211                           // 000000008884: D1FF00D0 074FA11F
	v_cndmask_b32_e64 v29, v208, v210, s[74:75]                // 00000000888C: D100001D 012BA5D0
	v_and_or_b32 v174, v29, v209, v28                          // 000000008894: D20100AE 0473A31D
	v_mov_b32_e32 v30, v190                                    // 00000000889C: 7E3C03BE
	v_mov_b32_e32 v31, v191                                    // 0000000088A0: 7E3E03BF
	v_cmp_u_f32_e64 s[74:75], v30, v30                         // 0000000088A4: D048004A 00023D1E
	v_bfe_u32 v208, v30, 16, 1                                 // 0000000088AC: D1C800D0 0205211E
	v_add3_u32 v208, v30, v208, v211                           // 0000000088B4: D1FF00D0 074FA11E
	v_cndmask_b32_e64 v28, v208, v210, s[74:75]                // 0000000088BC: D100001C 012BA5D0
	v_lshrrev_b32_e32 v28, 16, v28                             // 0000000088C4: 20383890
	v_cmp_u_f32_e64 s[74:75], v31, v31                         // 0000000088C8: D048004A 00023F1F
	v_bfe_u32 v208, v31, 16, 1                                 // 0000000088D0: D1C800D0 0205211F
	v_add3_u32 v208, v31, v208, v211                           // 0000000088D8: D1FF00D0 074FA11F
	v_cndmask_b32_e64 v29, v208, v210, s[74:75]                // 0000000088E0: D100001D 012BA5D0
	v_and_or_b32 v175, v29, v209, v28                          // 0000000088E8: D20100AF 0473A31D
	v_mov_b32_e32 v30, v192                                    // 0000000088F0: 7E3C03C0
	v_mov_b32_e32 v31, v193                                    // 0000000088F4: 7E3E03C1
	v_cmp_u_f32_e64 s[74:75], v30, v30                         // 0000000088F8: D048004A 00023D1E
	v_bfe_u32 v208, v30, 16, 1                                 // 000000008900: D1C800D0 0205211E
	v_add3_u32 v208, v30, v208, v211                           // 000000008908: D1FF00D0 074FA11E
	v_cndmask_b32_e64 v28, v208, v210, s[74:75]                // 000000008910: D100001C 012BA5D0
	v_lshrrev_b32_e32 v28, 16, v28                             // 000000008918: 20383890
	v_cmp_u_f32_e64 s[74:75], v31, v31                         // 00000000891C: D048004A 00023F1F
	v_bfe_u32 v208, v31, 16, 1                                 // 000000008924: D1C800D0 0205211F
	v_add3_u32 v208, v31, v208, v211                           // 00000000892C: D1FF00D0 074FA11F
	v_cndmask_b32_e64 v29, v208, v210, s[74:75]                // 000000008934: D100001D 012BA5D0
	v_and_or_b32 v176, v29, v209, v28                          // 00000000893C: D20100B0 0473A31D
	v_mov_b32_e32 v30, v194                                    // 000000008944: 7E3C03C2
	v_mov_b32_e32 v31, v195                                    // 000000008948: 7E3E03C3
	v_cmp_u_f32_e64 s[74:75], v30, v30                         // 00000000894C: D048004A 00023D1E
	v_bfe_u32 v208, v30, 16, 1                                 // 000000008954: D1C800D0 0205211E
	v_add3_u32 v208, v30, v208, v211                           // 00000000895C: D1FF00D0 074FA11E
	v_cndmask_b32_e64 v28, v208, v210, s[74:75]                // 000000008964: D100001C 012BA5D0
	v_lshrrev_b32_e32 v28, 16, v28                             // 00000000896C: 20383890
	v_cmp_u_f32_e64 s[74:75], v31, v31                         // 000000008970: D048004A 00023F1F
	v_bfe_u32 v208, v31, 16, 1                                 // 000000008978: D1C800D0 0205211F
	v_add3_u32 v208, v31, v208, v211                           // 000000008980: D1FF00D0 074FA11F
	v_cndmask_b32_e64 v29, v208, v210, s[74:75]                // 000000008988: D100001D 012BA5D0
	v_and_or_b32 v177, v29, v209, v28                          // 000000008990: D20100B1 0473A31D
	v_mov_b32_e32 v30, v196                                    // 000000008998: 7E3C03C4
	v_mov_b32_e32 v31, v197                                    // 00000000899C: 7E3E03C5
	v_cmp_u_f32_e64 s[74:75], v30, v30                         // 0000000089A0: D048004A 00023D1E
	v_bfe_u32 v208, v30, 16, 1                                 // 0000000089A8: D1C800D0 0205211E
	v_add3_u32 v208, v30, v208, v211                           // 0000000089B0: D1FF00D0 074FA11E
	v_cndmask_b32_e64 v28, v208, v210, s[74:75]                // 0000000089B8: D100001C 012BA5D0
	v_lshrrev_b32_e32 v28, 16, v28                             // 0000000089C0: 20383890
	v_cmp_u_f32_e64 s[74:75], v31, v31                         // 0000000089C4: D048004A 00023F1F
	v_bfe_u32 v208, v31, 16, 1                                 // 0000000089CC: D1C800D0 0205211F
	v_add3_u32 v208, v31, v208, v211                           // 0000000089D4: D1FF00D0 074FA11F
	v_cndmask_b32_e64 v29, v208, v210, s[74:75]                // 0000000089DC: D100001D 012BA5D0
	v_and_or_b32 v178, v29, v209, v28                          // 0000000089E4: D20100B2 0473A31D
	v_mov_b32_e32 v30, v198                                    // 0000000089EC: 7E3C03C6
	v_mov_b32_e32 v31, v199                                    // 0000000089F0: 7E3E03C7
	v_cmp_u_f32_e64 s[74:75], v30, v30                         // 0000000089F4: D048004A 00023D1E
	v_bfe_u32 v208, v30, 16, 1                                 // 0000000089FC: D1C800D0 0205211E
	v_add3_u32 v208, v30, v208, v211                           // 000000008A04: D1FF00D0 074FA11E
	v_cndmask_b32_e64 v28, v208, v210, s[74:75]                // 000000008A0C: D100001C 012BA5D0
	v_lshrrev_b32_e32 v28, 16, v28                             // 000000008A14: 20383890
	v_cmp_u_f32_e64 s[74:75], v31, v31                         // 000000008A18: D048004A 00023F1F
	v_bfe_u32 v208, v31, 16, 1                                 // 000000008A20: D1C800D0 0205211F
	v_add3_u32 v208, v31, v208, v211                           // 000000008A28: D1FF00D0 074FA11F
	v_cndmask_b32_e64 v29, v208, v210, s[74:75]                // 000000008A30: D100001D 012BA5D0
	v_and_or_b32 v179, v29, v209, v28                          // 000000008A38: D20100B3 0473A31D
	v_mov_b32_e32 v30, v200                                    // 000000008A40: 7E3C03C8
	v_mov_b32_e32 v31, v201                                    // 000000008A44: 7E3E03C9
	v_cmp_u_f32_e64 s[74:75], v30, v30                         // 000000008A48: D048004A 00023D1E
	v_bfe_u32 v208, v30, 16, 1                                 // 000000008A50: D1C800D0 0205211E
	v_add3_u32 v208, v30, v208, v211                           // 000000008A58: D1FF00D0 074FA11E
	v_cndmask_b32_e64 v28, v208, v210, s[74:75]                // 000000008A60: D100001C 012BA5D0
	v_lshrrev_b32_e32 v28, 16, v28                             // 000000008A68: 20383890
	v_cmp_u_f32_e64 s[74:75], v31, v31                         // 000000008A6C: D048004A 00023F1F
	v_bfe_u32 v208, v31, 16, 1                                 // 000000008A74: D1C800D0 0205211F
	v_add3_u32 v208, v31, v208, v211                           // 000000008A7C: D1FF00D0 074FA11F
	v_cndmask_b32_e64 v29, v208, v210, s[74:75]                // 000000008A84: D100001D 012BA5D0
	v_and_or_b32 v180, v29, v209, v28                          // 000000008A8C: D20100B4 0473A31D
	v_mov_b32_e32 v30, v202                                    // 000000008A94: 7E3C03CA
	v_mov_b32_e32 v31, v203                                    // 000000008A98: 7E3E03CB
	v_cmp_u_f32_e64 s[74:75], v30, v30                         // 000000008A9C: D048004A 00023D1E
	v_bfe_u32 v208, v30, 16, 1                                 // 000000008AA4: D1C800D0 0205211E
	v_add3_u32 v208, v30, v208, v211                           // 000000008AAC: D1FF00D0 074FA11E
	v_cndmask_b32_e64 v28, v208, v210, s[74:75]                // 000000008AB4: D100001C 012BA5D0
	v_lshrrev_b32_e32 v28, 16, v28                             // 000000008ABC: 20383890
	v_cmp_u_f32_e64 s[74:75], v31, v31                         // 000000008AC0: D048004A 00023F1F
	v_bfe_u32 v208, v31, 16, 1                                 // 000000008AC8: D1C800D0 0205211F
	v_add3_u32 v208, v31, v208, v211                           // 000000008AD0: D1FF00D0 074FA11F
	v_cndmask_b32_e64 v29, v208, v210, s[74:75]                // 000000008AD8: D100001D 012BA5D0
	v_and_or_b32 v181, v29, v209, v28                          // 000000008AE0: D20100B5 0473A31D
	v_mov_b32_e32 v30, v204                                    // 000000008AE8: 7E3C03CC
	v_mov_b32_e32 v31, v205                                    // 000000008AEC: 7E3E03CD
	v_cmp_u_f32_e64 s[74:75], v30, v30                         // 000000008AF0: D048004A 00023D1E
	v_bfe_u32 v208, v30, 16, 1                                 // 000000008AF8: D1C800D0 0205211E
	v_add3_u32 v208, v30, v208, v211                           // 000000008B00: D1FF00D0 074FA11E
	v_cndmask_b32_e64 v28, v208, v210, s[74:75]                // 000000008B08: D100001C 012BA5D0
	v_lshrrev_b32_e32 v28, 16, v28                             // 000000008B10: 20383890
	v_cmp_u_f32_e64 s[74:75], v31, v31                         // 000000008B14: D048004A 00023F1F
	v_bfe_u32 v208, v31, 16, 1                                 // 000000008B1C: D1C800D0 0205211F
	v_add3_u32 v208, v31, v208, v211                           // 000000008B24: D1FF00D0 074FA11F
	v_cndmask_b32_e64 v29, v208, v210, s[74:75]                // 000000008B2C: D100001D 012BA5D0
	v_and_or_b32 v182, v29, v209, v28                          // 000000008B34: D20100B6 0473A31D
	v_mov_b32_e32 v30, v206                                    // 000000008B3C: 7E3C03CE
	v_mov_b32_e32 v31, v207                                    // 000000008B40: 7E3E03CF
	v_cmp_u_f32_e64 s[74:75], v30, v30                         // 000000008B44: D048004A 00023D1E
	v_bfe_u32 v208, v30, 16, 1                                 // 000000008B4C: D1C800D0 0205211E
	v_add3_u32 v208, v30, v208, v211                           // 000000008B54: D1FF00D0 074FA11E
	v_cndmask_b32_e64 v28, v208, v210, s[74:75]                // 000000008B5C: D100001C 012BA5D0
	v_lshrrev_b32_e32 v28, 16, v28                             // 000000008B64: 20383890
	v_cmp_u_f32_e64 s[74:75], v31, v31                         // 000000008B68: D048004A 00023F1F
	v_bfe_u32 v208, v31, 16, 1                                 // 000000008B70: D1C800D0 0205211F
	v_add3_u32 v208, v31, v208, v211                           // 000000008B78: D1FF00D0 074FA11F
	v_cndmask_b32_e64 v29, v208, v210, s[74:75]                // 000000008B80: D100001D 012BA5D0
	v_and_or_b32 v183, v29, v209, v28                          // 000000008B88: D20100B7 0473A31D
	ds_write_b64 v25, v[160:161]                               // 000000008B90: D89A0000 0000A019
	ds_write_b64 v25, v[162:163] offset:544                    // 000000008B98: D89A0220 0000A219
	ds_write_b64 v25, v[164:165] offset:1088                   // 000000008BA0: D89A0440 0000A419
	ds_write_b64 v25, v[166:167] offset:1632                   // 000000008BA8: D89A0660 0000A619
	ds_write_b64 v25, v[168:169] offset:2176                   // 000000008BB0: D89A0880 0000A819
	ds_write_b64 v25, v[170:171] offset:2720                   // 000000008BB8: D89A0AA0 0000AA19
	ds_write_b64 v25, v[172:173] offset:3264                   // 000000008BC0: D89A0CC0 0000AC19
	ds_write_b64 v25, v[174:175] offset:3808                   // 000000008BC8: D89A0EE0 0000AE19
	ds_write_b64 v25, v[176:177] offset:4352                   // 000000008BD0: D89A1100 0000B019
	ds_write_b64 v25, v[178:179] offset:4896                   // 000000008BD8: D89A1320 0000B219
	ds_write_b64 v25, v[180:181] offset:5440                   // 000000008BE0: D89A1540 0000B419
	ds_write_b64 v25, v[182:183] offset:5984                   // 000000008BE8: D89A1760 0000B619
	s_waitcnt lgkmcnt(0)                                       // 000000008BF0: BF8CC07F
	s_barrier                                                  // 000000008BF4: BF8A0000
	ds_read_b64 v[160:161], v24                                // 000000008BF8: D8EC0000 A0000018
	ds_read_b64 v[162:163], v24 offset:128                     // 000000008C00: D8EC0080 A2000018
	ds_read_b64 v[164:165], v24 offset:64                      // 000000008C08: D8EC0040 A4000018
	ds_read_b64 v[166:167], v24 offset:192                     // 000000008C10: D8EC00C0 A6000018
	ds_read_b64 v[168:169], v24 offset:2176                    // 000000008C18: D8EC0880 A8000018
	ds_read_b64 v[170:171], v24 offset:2304                    // 000000008C20: D8EC0900 AA000018
	ds_read_b64 v[172:173], v24 offset:2240                    // 000000008C28: D8EC08C0 AC000018
	ds_read_b64 v[174:175], v24 offset:2368                    // 000000008C30: D8EC0940 AE000018
	ds_read_b64 v[176:177], v24 offset:4352                    // 000000008C38: D8EC1100 B0000018
	ds_read_b64 v[178:179], v24 offset:4480                    // 000000008C40: D8EC1180 B2000018
	ds_read_b64 v[180:181], v24 offset:4416                    // 000000008C48: D8EC1140 B4000018
	ds_read_b64 v[182:183], v24 offset:4544                    // 000000008C50: D8EC11C0 B6000018
	s_waitcnt lgkmcnt(0)                                       // 000000008C58: BF8CC07F
	buffer_store_dwordx4 v[160:163], v5, s[40:43], 0 idxen     // 000000008C5C: E07C2000 800AA005
	v_add_u32_e32 v5, 32, v5                                   // 000000008C64: 680A0AA0
	buffer_store_dwordx4 v[164:167], v6, s[40:43], 0 idxen     // 000000008C68: E07C2000 800AA406
	v_add_u32_e32 v6, 32, v6                                   // 000000008C70: 680C0CA0
	buffer_store_dwordx4 v[168:171], v5, s[40:43], 0 idxen     // 000000008C74: E07C2000 800AA805
	v_add_u32_e32 v5, 32, v5                                   // 000000008C7C: 680A0AA0
	buffer_store_dwordx4 v[172:175], v6, s[40:43], 0 idxen     // 000000008C80: E07C2000 800AAC06
	v_add_u32_e32 v6, 32, v6                                   // 000000008C88: 680C0CA0
	s_mov_b64 exec, s[86:87]                                   // 000000008C8C: BEFE0156
	buffer_store_dwordx4 v[176:179], v5, s[40:43], 0 idxen     // 000000008C90: E07C2000 800AB005
	s_mov_b64 exec, s[84:85]                                   // 000000008C98: BEFE0154
	v_add_u32_e32 v5, 32, v5                                   // 000000008C9C: 680A0AA0
	s_mov_b64 exec, s[86:87]                                   // 000000008CA0: BEFE0156
	buffer_store_dwordx4 v[180:183], v6, s[40:43], 0 idxen     // 000000008CA4: E07C2000 800AB406
	s_mov_b64 exec, s[84:85]                                   // 000000008CAC: BEFE0154
	v_add_u32_e32 v6, 32, v6                                   // 000000008CB0: 680C0CA0

0000000000008cb4 <label_132D>:
	s_waitcnt vmcnt(0) expcnt(0) lgkmcnt(0)                    // 000000008CB4: BF8C0000
	s_endpgm                                                   // 000000008CB8: BF810000
